;; amdgpu-corpus repo=ggml-org/llama.cpp kind=compiled arch=gfx90a opt=O3
	.text
	.amdgcn_target "amdgcn-amd-amdhsa--gfx90a"
	.amdhsa_code_object_version 6
	.section	.text._ZL21gated_linear_attn_f32ILi64EEviiiifPKfS1_S1_S1_S1_Pf,"axG",@progbits,_ZL21gated_linear_attn_f32ILi64EEviiiifPKfS1_S1_S1_S1_Pf,comdat
	.globl	_ZL21gated_linear_attn_f32ILi64EEviiiifPKfS1_S1_S1_S1_Pf ; -- Begin function _ZL21gated_linear_attn_f32ILi64EEviiiifPKfS1_S1_S1_S1_Pf
	.p2align	8
	.type	_ZL21gated_linear_attn_f32ILi64EEviiiifPKfS1_S1_S1_S1_Pf,@function
_ZL21gated_linear_attn_f32ILi64EEviiiifPKfS1_S1_S1_S1_Pf: ; @_ZL21gated_linear_attn_f32ILi64EEviiiifPKfS1_S1_S1_S1_Pf
; %bb.0:
	s_mov_b64 s[26:27], s[2:3]
	s_mov_b64 s[24:25], s[0:1]
	s_add_u32 s24, s24, s7
	s_addc_u32 s25, s25, 0
	buffer_store_dword v0, off, s[24:27], 0 offset:8 ; 4-byte Folded Spill
	s_load_dwordx4 s[16:19], s[4:5], 0x0
	s_load_dwordx4 s[12:15], s[4:5], 0x38
	s_abs_i32 s1, s6
	s_waitcnt lgkmcnt(0)
	s_abs_i32 s0, s19
	v_cvt_f32_u32_e32 v1, s0
	s_sub_i32 s3, 0, s0
	s_xor_b32 s2, s6, s19
	s_ashr_i32 s2, s2, 31
	v_rcp_iflag_f32_e32 v1, v1
	v_mul_f32_e32 v1, 0x4f7ffffe, v1
	v_cvt_u32_f32_e32 v2, v1
	v_mov_b32_e32 v1, s13
	v_readfirstlane_b32 s7, v2
	s_mul_i32 s3, s3, s7
	s_mul_hi_u32 s3, s7, s3
	s_add_i32 s7, s7, s3
	s_mul_hi_u32 s3, s1, s7
	s_mul_i32 s7, s3, s0
	s_sub_i32 s1, s1, s7
	s_add_i32 s8, s3, 1
	s_sub_i32 s7, s1, s0
	s_cmp_ge_u32 s1, s0
	s_cselect_b32 s3, s8, s3
	s_cselect_b32 s1, s7, s1
	s_add_i32 s7, s3, 1
	s_cmp_ge_u32 s1, s0
	s_cselect_b32 s0, s7, s3
	s_xor_b32 s0, s0, s2
	s_sub_i32 s0, s0, s2
	s_mul_i32 s1, s0, s19
	s_mul_i32 s2, s18, s0
	s_sub_i32 s1, s6, s1
	s_lshl_b32 s2, s2, 6
	s_lshl_b32 s3, s1, 12
	s_add_i32 s3, s3, s2
	v_add_u32_e32 v56, s3, v0
	v_ashrrev_i32_e32 v57, 31, v56
	v_lshlrev_b64 v[4:5], 2, v[56:57]
	v_add_u32_e32 v6, 0x400, v56
	v_add_co_u32_e32 v4, vcc, s12, v4
	v_ashrrev_i32_e32 v7, 31, v6
	v_addc_co_u32_e32 v5, vcc, v1, v5, vcc
	v_lshlrev_b64 v[6:7], 2, v[6:7]
	v_add_u32_e32 v8, 0x440, v56
	v_mov_b32_e32 v0, s13
	v_add_co_u32_e32 v38, vcc, s12, v6
	v_ashrrev_i32_e32 v9, 31, v8
	v_addc_co_u32_e32 v39, vcc, v0, v7, vcc
	v_lshlrev_b64 v[8:9], 2, v[8:9]
	v_add_u32_e32 v10, 0x480, v56
	v_add_co_u32_e32 v8, vcc, s12, v8
	v_ashrrev_i32_e32 v11, 31, v10
	v_addc_co_u32_e32 v9, vcc, v0, v9, vcc
	v_lshlrev_b64 v[10:11], 2, v[10:11]
	v_add_u32_e32 v12, 0x4c0, v56
	v_add_co_u32_e32 v10, vcc, s12, v10
	v_ashrrev_i32_e32 v13, 31, v12
	v_addc_co_u32_e32 v11, vcc, v0, v11, vcc
	v_lshlrev_b64 v[12:13], 2, v[12:13]
	v_add_u32_e32 v14, 0x500, v56
	v_add_co_u32_e32 v12, vcc, s12, v12
	v_ashrrev_i32_e32 v15, 31, v14
	v_addc_co_u32_e32 v13, vcc, v0, v13, vcc
	v_lshlrev_b64 v[14:15], 2, v[14:15]
	v_add_u32_e32 v16, 0x540, v56
	v_add_co_u32_e32 v14, vcc, s12, v14
	v_ashrrev_i32_e32 v17, 31, v16
	v_addc_co_u32_e32 v15, vcc, v0, v15, vcc
	v_lshlrev_b64 v[16:17], 2, v[16:17]
	v_add_u32_e32 v18, 0x580, v56
	v_add_co_u32_e32 v16, vcc, s12, v16
	v_ashrrev_i32_e32 v19, 31, v18
	v_addc_co_u32_e32 v17, vcc, v0, v17, vcc
	v_lshlrev_b64 v[18:19], 2, v[18:19]
	v_add_u32_e32 v20, 0x5c0, v56
	v_add_co_u32_e32 v18, vcc, s12, v18
	v_ashrrev_i32_e32 v21, 31, v20
	v_addc_co_u32_e32 v19, vcc, v0, v19, vcc
	v_lshlrev_b64 v[20:21], 2, v[20:21]
	v_add_co_u32_e32 v40, vcc, s12, v20
	v_addc_co_u32_e32 v41, vcc, v0, v21, vcc
	global_load_dword v66, v[4:5], off
	global_load_dword v67, v[4:5], off offset:256
	global_load_dword v64, v[4:5], off offset:512
	;; [unrolled: 1-line block ×9, first 2 shown]
	v_add_u32_e32 v22, 0x600, v56
	v_ashrrev_i32_e32 v23, 31, v22
	v_lshlrev_b64 v[22:23], 2, v[22:23]
	v_add_u32_e32 v24, 0x640, v56
	v_add_co_u32_e32 v42, vcc, s12, v22
	v_ashrrev_i32_e32 v25, 31, v24
	v_addc_co_u32_e32 v43, vcc, v0, v23, vcc
	v_lshlrev_b64 v[24:25], 2, v[24:25]
	v_add_u32_e32 v26, 0x680, v56
	v_add_co_u32_e32 v44, vcc, s12, v24
	v_ashrrev_i32_e32 v27, 31, v26
	v_addc_co_u32_e32 v45, vcc, v0, v25, vcc
	;; [unrolled: 5-line block ×4, first 2 shown]
	v_lshlrev_b64 v[30:31], 2, v[30:31]
	s_waitcnt vmcnt(0)
	buffer_store_dword v20, off, s[24:27], 0 offset:36 ; 4-byte Folded Spill
	s_nop 0
	buffer_store_dword v21, off, s[24:27], 0 offset:40 ; 4-byte Folded Spill
	global_load_dword v20, v[4:5], off offset:2560
	s_nop 0
	global_load_dword v21, v[4:5], off offset:2816
	v_add_u32_e32 v32, 0x740, v56
	v_add_co_u32_e32 v54, vcc, s12, v30
	v_ashrrev_i32_e32 v33, 31, v32
	v_addc_co_u32_e32 v55, vcc, v0, v31, vcc
	v_lshlrev_b64 v[32:33], 2, v[32:33]
	v_add_u32_e32 v34, 0x780, v56
	v_add_co_u32_e32 v32, vcc, s12, v32
	v_ashrrev_i32_e32 v35, 31, v34
	v_addc_co_u32_e32 v33, vcc, v0, v33, vcc
	v_lshlrev_b64 v[34:35], 2, v[34:35]
	;; [unrolled: 5-line block ×3, first 2 shown]
	v_add_co_u32_e32 v68, vcc, s12, v36
	v_add_u32_e32 v36, 0x800, v56
	v_addc_co_u32_e32 v69, vcc, v0, v37, vcc
	v_ashrrev_i32_e32 v37, 31, v36
	v_lshlrev_b64 v[36:37], 2, v[36:37]
	v_add_co_u32_e32 v70, vcc, s12, v36
	v_add_u32_e32 v36, 0x840, v56
	s_waitcnt vmcnt(0)
	buffer_store_dword v20, off, s[24:27], 0 offset:28 ; 4-byte Folded Spill
	s_nop 0
	buffer_store_dword v21, off, s[24:27], 0 offset:32 ; 4-byte Folded Spill
	global_load_dword v20, v[4:5], off offset:3072
	s_nop 0
	global_load_dword v21, v[4:5], off offset:3328
	v_addc_co_u32_e32 v71, vcc, v0, v37, vcc
	v_ashrrev_i32_e32 v37, 31, v36
	v_lshlrev_b64 v[36:37], 2, v[36:37]
	v_add_co_u32_e32 v6, vcc, s12, v36
	v_add_u32_e32 v36, 0x880, v56
	v_addc_co_u32_e32 v7, vcc, v0, v37, vcc
	v_ashrrev_i32_e32 v37, 31, v36
	v_lshlrev_b64 v[36:37], 2, v[36:37]
	v_add_co_u32_e32 v24, vcc, s12, v36
	v_add_u32_e32 v36, 0x8c0, v56
	;; [unrolled: 5-line block ×4, first 2 shown]
	v_addc_co_u32_e32 v79, vcc, v0, v37, vcc
	v_ashrrev_i32_e32 v37, 31, v36
	s_waitcnt vmcnt(0)
	buffer_store_dword v20, off, s[24:27], 0 offset:20 ; 4-byte Folded Spill
	s_nop 0
	buffer_store_dword v21, off, s[24:27], 0 offset:24 ; 4-byte Folded Spill
	global_load_dword v20, v[4:5], off offset:3584
	s_nop 0
	global_load_dword v21, v[4:5], off offset:3840
	v_lshlrev_b64 v[36:37], 2, v[36:37]
	v_add_co_u32_e32 v80, vcc, s12, v36
	v_add_u32_e32 v36, 0x980, v56
	v_addc_co_u32_e32 v81, vcc, v0, v37, vcc
	v_ashrrev_i32_e32 v37, 31, v36
	v_lshlrev_b64 v[36:37], 2, v[36:37]
	v_add_co_u32_e32 v82, vcc, s12, v36
	v_add_u32_e32 v36, 0x9c0, v56
	v_addc_co_u32_e32 v83, vcc, v0, v37, vcc
	v_ashrrev_i32_e32 v37, 31, v36
	;; [unrolled: 5-line block ×26, first 2 shown]
	v_lshlrev_b64 v[36:37], 2, v[36:37]
	v_add_co_u32_e32 v0, vcc, s12, v36
	s_waitcnt vmcnt(0)
	buffer_store_dword v20, off, s[24:27], 0 ; 4-byte Folded Spill
	s_nop 0
	buffer_store_dword v21, off, s[24:27], 0 offset:4 ; 4-byte Folded Spill
	v_addc_co_u32_e32 v1, vcc, v1, v37, vcc
	global_load_dword v124, v[38:39], off
	global_load_dword v125, v[8:9], off
	;; [unrolled: 1-line block ×16, first 2 shown]
	s_nop 0
	global_load_dword v34, v[70:71], off
	global_load_dword v35, v[6:7], off
	;; [unrolled: 1-line block ×32, first 2 shown]
	s_abs_i32 s2, s16
	buffer_load_dword v1, off, s[24:27], 0 offset:8 ; 4-byte Folded Reload
	v_cvt_f32_u32_e32 v0, s2
	s_sub_i32 s8, 0, s2
	s_abs_i32 s7, s17
	s_xor_b32 s6, s17, s16
	v_rcp_iflag_f32_e32 v0, v0
	s_ashr_i32 s6, s6, 31
	v_mul_f32_e32 v0, 0x4f7ffffe, v0
	v_cvt_u32_f32_e32 v0, v0
	v_readfirstlane_b32 s3, v0
	s_mul_i32 s8, s8, s3
	s_mul_hi_u32 s8, s3, s8
	s_add_i32 s3, s3, s8
	s_mul_hi_u32 s3, s7, s3
	s_mul_i32 s8, s3, s2
	s_sub_i32 s7, s7, s8
	s_add_i32 s8, s3, 1
	s_sub_i32 s9, s7, s2
	s_cmp_ge_u32 s7, s2
	s_cselect_b32 s3, s8, s3
	s_cselect_b32 s7, s9, s7
	s_add_i32 s8, s3, 1
	s_cmp_ge_u32 s7, s2
	s_cselect_b32 s2, s8, s3
	s_xor_b32 s2, s2, s6
	s_sub_i32 s2, s2, s6
	s_mul_i32 s2, s2, s18
	s_mul_i32 s3, s2, s0
	s_add_i32 s0, s0, 1
	s_mul_i32 s2, s2, s0
	s_waitcnt vmcnt(0)
	v_lshl_add_u32 v0, s1, 6, v1
	v_add_u32_e32 v73, s2, v0
	v_add_u32_e32 v68, s3, v0
	v_cmp_lt_i32_e32 vcc, v68, v73
	s_and_saveexec_b64 s[12:13], vcc
	s_cbranch_execz .LBB0_4
; %bb.1:
	v_lshlrev_b32_e32 v0, 2, v1
	buffer_store_dword v56, off, s[24:27], 0 offset:44 ; 4-byte Folded Spill
	s_nop 0
	buffer_store_dword v57, off, s[24:27], 0 offset:48 ; 4-byte Folded Spill
	v_add_u32_e32 v1, 0x100, v0
	s_load_dword s16, s[4:5], 0x10
	s_nop 0
	s_load_dwordx8 s[4:11], s[4:5], 0x18
	buffer_store_dword v1, off, s[24:27], 0 offset:12 ; 4-byte Folded Spill
	buffer_store_dword v0, off, s[24:27], 0 offset:8 ; 4-byte Folded Spill
	v_add_u32_e32 v0, 0x200, v0
	buffer_store_dword v0, off, s[24:27], 0 offset:16 ; 4-byte Folded Spill
	buffer_load_dword v46, off, s[24:27], 0 ; 4-byte Folded Reload
	buffer_load_dword v47, off, s[24:27], 0 offset:4 ; 4-byte Folded Reload
	buffer_load_dword v48, off, s[24:27], 0 offset:20 ; 4-byte Folded Reload
	;; [unrolled: 1-line block ×7, first 2 shown]
	v_ashrrev_i32_e32 v69, 31, v68
	s_ashr_i32 s19, s18, 31
	v_lshlrev_b64 v[0:1], 2, v[68:69]
	s_lshl_b64 s[22:23], s[18:19], 2
	s_mov_b64 s[20:21], 0
	v_mov_b32_e32 v69, 0
	v_pk_mov_b32 v[42:43], v[58:59], v[58:59] op_sel:[0,1]
.LBB0_2:                                ; =>This Inner Loop Header: Depth=1
	buffer_store_dword v20, off, s[24:27], 0 ; 4-byte Folded Spill
	s_nop 0
	buffer_store_dword v21, off, s[24:27], 0 offset:4 ; 4-byte Folded Spill
	s_waitcnt lgkmcnt(0)
	v_mov_b32_e32 v2, s5
	v_mov_b32_e32 v3, s9
	v_add_co_u32_e32 v70, vcc, s8, v0
	v_mov_b32_e32 v20, s11
	v_add_co_u32_e64 v78, s[0:1], s10, v0
	v_add_co_u32_e64 v76, s[2:3], s4, v0
	v_addc_co_u32_e64 v77, s[2:3], v2, v1, s[2:3]
	v_addc_co_u32_e32 v71, vcc, v3, v1, vcc
	v_addc_co_u32_e64 v79, vcc, v20, v1, s[0:1]
	s_barrier
	global_load_dword v2, v[76:77], off
	s_nop 0
	global_load_dword v76, v[70:71], off
	global_load_dword v77, v[78:79], off
	v_mov_b32_e32 v71, s7
	v_mov_b32_e32 v3, s15
	v_add_co_u32_e32 v70, vcc, s14, v0
	v_add_co_u32_e64 v78, s[0:1], s6, v0
	v_addc_co_u32_e64 v79, s[0:1], v71, v1, s[0:1]
	v_addc_co_u32_e32 v71, vcc, v3, v1, vcc
	buffer_load_dword v3, off, s[24:27], 0 offset:8 ; 4-byte Folded Reload
	v_mov_b32_e32 v20, s23
	v_add_co_u32_e64 v0, s[2:3], s22, v0
	v_addc_co_u32_e64 v1, vcc, v1, v20, s[2:3]
	v_pk_mov_b32 v[20:21], v[40:41], v[40:41] op_sel:[0,1]
	v_add_u32_e32 v68, s18, v68
	v_cmp_ge_i32_e32 vcc, v68, v73
	s_or_b64 s[20:21], vcc, s[20:21]
	s_waitcnt vmcnt(0)
	ds_write_b32 v3, v2
	buffer_load_dword v2, off, s[24:27], 0 offset:12 ; 4-byte Folded Reload
	s_waitcnt vmcnt(0)
	ds_write_b32 v2, v76
	buffer_load_dword v2, off, s[24:27], 0 offset:16 ; 4-byte Folded Reload
	s_waitcnt vmcnt(0)
	ds_write_b32 v2, v77
	s_waitcnt lgkmcnt(0)
	s_barrier
	global_load_dword v72, v[78:79], off
	ds_read_b128 v[76:79], v69
	ds_read_b128 v[80:83], v69 offset:16
	ds_read_b128 v[84:87], v69 offset:32
	;; [unrolled: 1-line block ×11, first 2 shown]
	s_waitcnt lgkmcnt(7)
	v_pk_mul_f32 v[66:67], v[66:67], v[92:93]
	v_pk_mul_f32 v[64:65], v[64:65], v[94:95]
	ds_read_b128 v[92:95], v69 offset:304
	s_waitcnt lgkmcnt(7)
	v_pk_mul_f32 v[120:121], v[62:63], v[96:97]
	v_pk_mul_f32 v[122:123], v[60:61], v[98:99]
	ds_read_b128 v[60:63], v69 offset:576
	s_waitcnt lgkmcnt(5)
	v_pk_mul_f32 v[108:109], v[52:53], v[108:109]
	v_pk_mul_f32 v[110:111], v[50:51], v[110:111]
	s_waitcnt lgkmcnt(4)
	v_pk_mul_f32 v[112:113], v[48:49], v[112:113]
	v_pk_mul_f32 v[114:115], v[46:47], v[114:115]
	ds_read_b128 v[52:55], v69 offset:608
	ds_read_b128 v[48:51], v69 offset:624
	s_waitcnt lgkmcnt(4)
	v_pk_mul_f32 v[74:75], v[74:75], v[56:57]
	v_pk_mov_b32 v[56:57], v[44:45], v[44:45] op_sel:[0,1]
	ds_read_b128 v[44:47], v69 offset:640
	s_waitcnt lgkmcnt(3)
	v_pk_mul_f32 v[126:127], v[126:127], v[62:63]
	v_pk_mul_f32 v[2:3], v[42:43], v[58:59]
	s_waitcnt lgkmcnt(2)
	v_pk_mul_f32 v[52:53], v[38:39], v[52:53]
	v_pk_mul_f32 v[54:55], v[36:37], v[54:55]
	ds_read_b128 v[40:43], v69 offset:656
	ds_read_b128 v[36:39], v69 offset:672
	s_waitcnt lgkmcnt(2)
	v_pk_mul_f32 v[44:45], v[34:35], v[44:45]
	v_pk_mul_f32 v[46:47], v[32:33], v[46:47]
	ds_read_b128 v[32:35], v69 offset:688
	v_pk_mov_b32 v[62:63], v[28:29], v[28:29] op_sel:[0,1]
	v_pk_mov_b32 v[96:97], v[30:31], v[30:31] op_sel:[0,1]
	ds_read_b128 v[28:31], v69 offset:704
	v_pk_mul_f32 v[124:125], v[124:125], v[60:61]
	v_pk_mul_f32 v[48:49], v[16:17], v[48:49]
	;; [unrolled: 1-line block ×3, first 2 shown]
	s_waitcnt lgkmcnt(3)
	v_pk_mul_f32 v[40:41], v[56:57], v[40:41]
	v_pk_mul_f32 v[42:43], v[20:21], v[42:43]
	s_waitcnt lgkmcnt(2)
	v_pk_mul_f32 v[36:37], v[12:13], v[36:37]
	v_pk_mul_f32 v[38:39], v[14:15], v[38:39]
	v_pk_mov_b32 v[58:59], v[24:25], v[24:25] op_sel:[0,1]
	v_pk_mov_b32 v[60:61], v[26:27], v[26:27] op_sel:[0,1]
	ds_read_b128 v[24:27], v69 offset:720
	s_waitcnt lgkmcnt(2)
	v_pk_mul_f32 v[32:33], v[8:9], v[32:33]
	v_pk_mul_f32 v[34:35], v[10:11], v[34:35]
	v_pk_mov_b32 v[56:57], v[22:23], v[22:23] op_sel:[0,1]
	ds_read_b128 v[20:23], v69 offset:736
	s_waitcnt lgkmcnt(2)
	v_pk_mul_f32 v[28:29], v[4:5], v[28:29]
	ds_read_b128 v[16:19], v69 offset:752
	ds_read_b128 v[12:15], v69 offset:64
	;; [unrolled: 1-line block ×3, first 2 shown]
	buffer_load_dword v4, off, s[24:27], 0  ; 4-byte Folded Reload
	buffer_load_dword v5, off, s[24:27], 0 offset:4 ; 4-byte Folded Reload
	v_pk_mul_f32 v[30:31], v[6:7], v[30:31]
	s_waitcnt lgkmcnt(3)
	v_pk_mul_f32 v[20:21], v[60:61], v[20:21]
	v_pk_mul_f32 v[22:23], v[58:59], v[22:23]
	s_waitcnt lgkmcnt(2)
	v_pk_mul_f32 v[56:57], v[56:57], v[16:17]
	v_pk_mul_f32 v[26:27], v[62:63], v[26:27]
	;; [unrolled: 1-line block ×3, first 2 shown]
	ds_read_b128 v[96:99], v69 offset:320
	s_waitcnt vmcnt(2)
	v_pk_fma_f32 v[60:61], v[72:73], v[82:83], v[122:123] op_sel_hi:[0,1,1]
	v_pk_fma_f32 v[122:123], v[72:73], v[84:85], v[108:109] op_sel_hi:[0,1,1]
	;; [unrolled: 1-line block ×3, first 2 shown]
	s_waitcnt lgkmcnt(1)
	v_pk_fma_f32 v[74:75], v[72:73], v[8:9], v[74:75] op_sel_hi:[0,1,1]
	v_pk_fma_f32 v[90:91], v[72:73], v[10:11], v[2:3] op_sel_hi:[0,1,1]
	ds_read_b128 v[8:11], v69 offset:128
	v_pk_fma_f32 v[62:63], v[72:73], v[80:81], v[120:121] op_sel_hi:[0,1,1]
	v_pk_fma_f32 v[120:121], v[72:73], v[86:87], v[110:111] op_sel_hi:[0,1,1]
	;; [unrolled: 1-line block ×5, first 2 shown]
	ds_read_b128 v[12:15], v69 offset:160
	v_pk_fma_f32 v[66:67], v[72:73], v[76:77], v[66:67] op_sel_hi:[0,1,1]
	v_pk_fma_f32 v[64:65], v[72:73], v[78:79], v[64:65] op_sel_hi:[0,1,1]
	ds_read_b128 v[76:79], v69 offset:336
	ds_read_b128 v[80:83], v69 offset:352
	;; [unrolled: 1-line block ×4, first 2 shown]
	s_waitcnt vmcnt(0)
	v_pk_mul_f32 v[58:59], v[4:5], v[18:19]
	ds_read_b128 v[4:7], v69 offset:96
	ds_read_b128 v[16:19], v69 offset:112
	s_waitcnt lgkmcnt(1)
	v_pk_fma_f32 v[88:89], v[72:73], v[4:5], v[52:53] op_sel_hi:[0,1,1]
	v_pk_fma_f32 v[52:53], v[72:73], v[6:7], v[54:55] op_sel_hi:[0,1,1]
	ds_read_b128 v[4:7], v69 offset:144
	s_waitcnt lgkmcnt(1)
	v_pk_fma_f32 v[16:17], v[72:73], v[16:17], v[48:49] op_sel_hi:[0,1,1]
	v_pk_fma_f32 v[48:49], v[72:73], v[8:9], v[44:45] op_sel_hi:[0,1,1]
	;; [unrolled: 1-line block ×3, first 2 shown]
	ds_read_b128 v[8:11], v69 offset:176
	v_pk_fma_f32 v[12:13], v[72:73], v[12:13], v[36:37] op_sel_hi:[0,1,1]
	v_pk_mov_b32 v[36:37], v[52:53], v[52:53] op_sel:[0,1]
	v_pk_mov_b32 v[52:53], v[122:123], v[122:123] op_sel:[0,1]
	v_pk_fma_f32 v[18:19], v[72:73], v[18:19], v[50:51] op_sel_hi:[0,1,1]
	s_waitcnt lgkmcnt(0)
	v_pk_fma_f32 v[8:9], v[72:73], v[8:9], v[32:33] op_sel_hi:[0,1,1]
	v_pk_mov_b32 v[32:33], v[2:3], v[2:3] op_sel:[0,1]
	v_fma_f32 v2, v66, v100, 0
	v_fmac_f32_e32 v2, v67, v101
	v_fmac_f32_e32 v2, v64, v102
	;; [unrolled: 1-line block ×8, first 2 shown]
	v_pk_mov_b32 v[50:51], v[120:121], v[120:121] op_sel:[0,1]
	v_fmac_f32_e32 v2, v53, v117
	v_fmac_f32_e32 v2, v50, v118
	v_pk_fma_f32 v[10:11], v[72:73], v[10:11], v[34:35] op_sel_hi:[0,1,1]
	v_pk_mov_b32 v[34:35], v[48:49], v[48:49] op_sel:[0,1]
	v_pk_mov_b32 v[48:49], v[110:111], v[110:111] op_sel:[0,1]
	v_fmac_f32_e32 v2, v51, v119
	v_fmac_f32_e32 v2, v48, v92
	v_pk_mov_b32 v[46:47], v[108:109], v[108:109] op_sel:[0,1]
	v_fmac_f32_e32 v2, v49, v93
	v_fmac_f32_e32 v2, v46, v94
	;; [unrolled: 1-line block ×8, first 2 shown]
	v_pk_fma_f32 v[44:45], v[72:73], v[4:5], v[40:41] op_sel_hi:[0,1,1]
	v_pk_fma_f32 v[40:41], v[72:73], v[6:7], v[42:43] op_sel_hi:[0,1,1]
	v_pk_mov_b32 v[42:43], v[90:91], v[90:91] op_sel:[0,1]
	v_fmac_f32_e32 v2, v75, v77
	ds_read_b128 v[4:7], v69 offset:192
	v_pk_fma_f32 v[14:15], v[72:73], v[14:15], v[38:39] op_sel_hi:[0,1,1]
	v_pk_mov_b32 v[38:39], v[88:89], v[88:89] op_sel:[0,1]
	ds_read_b128 v[88:91], v69 offset:208
	v_fmac_f32_e32 v2, v42, v78
	v_fmac_f32_e32 v2, v43, v79
	;; [unrolled: 1-line block ×4, first 2 shown]
	ds_read_b128 v[108:111], v69 offset:224
	v_fmac_f32_e32 v2, v36, v82
	s_waitcnt lgkmcnt(2)
	v_pk_fma_f32 v[4:5], v[72:73], v[4:5], v[28:29] op_sel_hi:[0,1,1]
	v_pk_fma_f32 v[6:7], v[72:73], v[6:7], v[30:31] op_sel_hi:[0,1,1]
	s_waitcnt lgkmcnt(1)
	v_pk_fma_f32 v[30:31], v[72:73], v[88:89], v[24:25] op_sel_hi:[0,1,1]
	v_pk_fma_f32 v[28:29], v[72:73], v[90:91], v[26:27] op_sel_hi:[0,1,1]
	ds_read_b128 v[88:91], v69 offset:384
	v_fmac_f32_e32 v2, v37, v83
	v_fmac_f32_e32 v2, v16, v84
	;; [unrolled: 1-line block ×4, first 2 shown]
	s_waitcnt lgkmcnt(1)
	v_pk_fma_f32 v[26:27], v[72:73], v[108:109], v[20:21] op_sel_hi:[0,1,1]
	v_pk_fma_f32 v[24:25], v[72:73], v[110:111], v[22:23] op_sel_hi:[0,1,1]
	ds_read_b128 v[108:111], v69 offset:400
	v_fmac_f32_e32 v2, v19, v87
	s_waitcnt lgkmcnt(1)
	v_fmac_f32_e32 v2, v34, v88
	v_fmac_f32_e32 v2, v35, v89
	;; [unrolled: 1-line block ×4, first 2 shown]
	v_pk_fma_f32 v[22:23], v[72:73], v[112:113], v[56:57] op_sel_hi:[0,1,1]
	v_pk_fma_f32 v[20:21], v[72:73], v[114:115], v[58:59] op_sel_hi:[0,1,1]
	ds_read_b128 v[112:115], v69 offset:416
	ds_read_b128 v[120:123], v69 offset:432
	s_waitcnt lgkmcnt(2)
	v_fmac_f32_e32 v2, v44, v108
	v_fmac_f32_e32 v2, v45, v109
	;; [unrolled: 1-line block ×4, first 2 shown]
	s_waitcnt lgkmcnt(1)
	v_fmac_f32_e32 v2, v12, v112
	v_fmac_f32_e32 v2, v13, v113
	;; [unrolled: 1-line block ×3, first 2 shown]
	ds_read_b128 v[100:103], v69 offset:448
	ds_read_b128 v[104:107], v69 offset:464
	v_fmac_f32_e32 v2, v15, v115
	s_waitcnt lgkmcnt(2)
	v_fmac_f32_e32 v2, v8, v120
	v_fmac_f32_e32 v2, v9, v121
	;; [unrolled: 1-line block ×4, first 2 shown]
	s_waitcnt lgkmcnt(1)
	v_fmac_f32_e32 v2, v4, v100
	v_fmac_f32_e32 v2, v5, v101
	;; [unrolled: 1-line block ×3, first 2 shown]
	ds_read_b128 v[116:119], v69 offset:480
	ds_read_b128 v[92:95], v69 offset:496
	v_fmac_f32_e32 v2, v7, v103
	s_waitcnt lgkmcnt(2)
	v_fmac_f32_e32 v2, v30, v104
	v_fmac_f32_e32 v2, v31, v105
	v_fmac_f32_e32 v2, v28, v106
	v_fmac_f32_e32 v2, v29, v107
	s_waitcnt lgkmcnt(1)
	v_fmac_f32_e32 v2, v26, v116
	v_fmac_f32_e32 v2, v27, v117
	v_fmac_f32_e32 v2, v24, v118
	;; [unrolled: 5-line block ×3, first 2 shown]
	v_fmac_f32_e32 v2, v21, v95
	v_mul_f32_e32 v2, s16, v2
	global_store_dword v[70:71], v2, off
	s_andn2_b64 exec, exec, s[20:21]
	s_cbranch_execnz .LBB0_2
; %bb.3:
	s_or_b64 exec, exec, s[20:21]
	buffer_store_dword v52, off, s[24:27], 0 offset:36 ; 4-byte Folded Spill
	s_nop 0
	buffer_store_dword v53, off, s[24:27], 0 offset:40 ; 4-byte Folded Spill
	buffer_store_dword v50, off, s[24:27], 0 offset:28 ; 4-byte Folded Spill
	s_nop 0
	buffer_store_dword v51, off, s[24:27], 0 offset:32 ; 4-byte Folded Spill
	;; [unrolled: 3-line block ×3, first 2 shown]
	buffer_store_dword v46, off, s[24:27], 0 ; 4-byte Folded Spill
	s_nop 0
	buffer_store_dword v47, off, s[24:27], 0 offset:4 ; 4-byte Folded Spill
	buffer_load_dword v56, off, s[24:27], 0 offset:44 ; 4-byte Folded Reload
	buffer_load_dword v57, off, s[24:27], 0 offset:48 ; 4-byte Folded Reload
	v_pk_mov_b32 v[58:59], v[42:43], v[42:43] op_sel:[0,1]
.LBB0_4:
	s_or_b64 exec, exec, s[12:13]
	s_mul_i32 s0, s18, s17
	s_waitcnt vmcnt(1)
	v_add_u32_e32 v0, s0, v56
	v_ashrrev_i32_e32 v1, 31, v0
	v_lshlrev_b64 v[2:3], 2, v[0:1]
	v_mov_b32_e32 v1, s15
	v_add_co_u32_e32 v2, vcc, s14, v2
	v_addc_co_u32_e32 v3, vcc, v1, v3, vcc
	global_store_dword v[2:3], v66, off
	global_store_dword v[2:3], v67, off offset:256
	global_store_dword v[2:3], v64, off offset:512
	;; [unrolled: 1-line block ×7, first 2 shown]
	buffer_load_dword v42, off, s[24:27], 0 offset:36 ; 4-byte Folded Reload
	buffer_load_dword v43, off, s[24:27], 0 offset:40 ; 4-byte Folded Reload
	s_waitcnt vmcnt(1)
	global_store_dword v[2:3], v42, off offset:2048
	s_waitcnt vmcnt(1)
	global_store_dword v[2:3], v43, off offset:2304
	buffer_load_dword v42, off, s[24:27], 0 offset:28 ; 4-byte Folded Reload
	s_nop 0
	buffer_load_dword v43, off, s[24:27], 0 offset:32 ; 4-byte Folded Reload
	s_waitcnt vmcnt(1)
	global_store_dword v[2:3], v42, off offset:2560
	s_waitcnt vmcnt(1)
	global_store_dword v[2:3], v43, off offset:2816
	buffer_load_dword v42, off, s[24:27], 0 offset:20 ; 4-byte Folded Reload
	s_nop 0
	buffer_load_dword v43, off, s[24:27], 0 offset:24 ; 4-byte Folded Reload
	s_waitcnt vmcnt(1)
	global_store_dword v[2:3], v42, off offset:3072
	s_waitcnt vmcnt(1)
	global_store_dword v[2:3], v43, off offset:3328
	buffer_load_dword v42, off, s[24:27], 0 ; 4-byte Folded Reload
	s_nop 0
	buffer_load_dword v43, off, s[24:27], 0 offset:4 ; 4-byte Folded Reload
	s_waitcnt vmcnt(1)
	global_store_dword v[2:3], v42, off offset:3584
	s_waitcnt vmcnt(1)
	global_store_dword v[2:3], v43, off offset:3840
	v_add_u32_e32 v2, 0x400, v0
	v_ashrrev_i32_e32 v3, 31, v2
	v_lshlrev_b64 v[2:3], 2, v[2:3]
	v_add_co_u32_e32 v2, vcc, s14, v2
	v_addc_co_u32_e32 v3, vcc, v1, v3, vcc
	global_store_dword v[2:3], v124, off
	v_add_u32_e32 v2, 0x440, v0
	v_ashrrev_i32_e32 v3, 31, v2
	v_lshlrev_b64 v[2:3], 2, v[2:3]
	v_add_co_u32_e32 v2, vcc, s14, v2
	v_addc_co_u32_e32 v3, vcc, v1, v3, vcc
	global_store_dword v[2:3], v125, off
	;; [unrolled: 6-line block ×46, first 2 shown]
	v_add_u32_e32 v2, 0xf80, v0
	v_ashrrev_i32_e32 v3, 31, v2
	v_lshlrev_b64 v[2:3], 2, v[2:3]
	v_add_co_u32_e32 v2, vcc, s14, v2
	v_add_u32_e32 v0, 0xfc0, v0
	v_addc_co_u32_e32 v3, vcc, v1, v3, vcc
	v_ashrrev_i32_e32 v1, 31, v0
	v_lshlrev_b64 v[0:1], 2, v[0:1]
	global_store_dword v[2:3], v20, off
	v_mov_b32_e32 v2, s15
	v_add_co_u32_e32 v0, vcc, s14, v0
	v_addc_co_u32_e32 v1, vcc, v2, v1, vcc
	global_store_dword v[0:1], v21, off
	s_endpgm
	.section	.rodata,"a",@progbits
	.p2align	6, 0x0
	.amdhsa_kernel _ZL21gated_linear_attn_f32ILi64EEviiiifPKfS1_S1_S1_S1_Pf
		.amdhsa_group_segment_fixed_size 768
		.amdhsa_private_segment_fixed_size 56
		.amdhsa_kernarg_size 72
		.amdhsa_user_sgpr_count 6
		.amdhsa_user_sgpr_private_segment_buffer 1
		.amdhsa_user_sgpr_dispatch_ptr 0
		.amdhsa_user_sgpr_queue_ptr 0
		.amdhsa_user_sgpr_kernarg_segment_ptr 1
		.amdhsa_user_sgpr_dispatch_id 0
		.amdhsa_user_sgpr_flat_scratch_init 0
		.amdhsa_user_sgpr_kernarg_preload_length 0
		.amdhsa_user_sgpr_kernarg_preload_offset 0
		.amdhsa_user_sgpr_private_segment_size 0
		.amdhsa_uses_dynamic_stack 0
		.amdhsa_system_sgpr_private_segment_wavefront_offset 1
		.amdhsa_system_sgpr_workgroup_id_x 1
		.amdhsa_system_sgpr_workgroup_id_y 0
		.amdhsa_system_sgpr_workgroup_id_z 0
		.amdhsa_system_sgpr_workgroup_info 0
		.amdhsa_system_vgpr_workitem_id 0
		.amdhsa_next_free_vgpr 128
		.amdhsa_next_free_sgpr 28
		.amdhsa_accum_offset 128
		.amdhsa_reserve_vcc 1
		.amdhsa_reserve_flat_scratch 0
		.amdhsa_float_round_mode_32 0
		.amdhsa_float_round_mode_16_64 0
		.amdhsa_float_denorm_mode_32 3
		.amdhsa_float_denorm_mode_16_64 3
		.amdhsa_dx10_clamp 1
		.amdhsa_ieee_mode 1
		.amdhsa_fp16_overflow 0
		.amdhsa_tg_split 0
		.amdhsa_exception_fp_ieee_invalid_op 0
		.amdhsa_exception_fp_denorm_src 0
		.amdhsa_exception_fp_ieee_div_zero 0
		.amdhsa_exception_fp_ieee_overflow 0
		.amdhsa_exception_fp_ieee_underflow 0
		.amdhsa_exception_fp_ieee_inexact 0
		.amdhsa_exception_int_div_zero 0
	.end_amdhsa_kernel
	.section	.text._ZL21gated_linear_attn_f32ILi64EEviiiifPKfS1_S1_S1_S1_Pf,"axG",@progbits,_ZL21gated_linear_attn_f32ILi64EEviiiifPKfS1_S1_S1_S1_Pf,comdat
.Lfunc_end0:
	.size	_ZL21gated_linear_attn_f32ILi64EEviiiifPKfS1_S1_S1_S1_Pf, .Lfunc_end0-_ZL21gated_linear_attn_f32ILi64EEviiiifPKfS1_S1_S1_S1_Pf
                                        ; -- End function
	.section	.AMDGPU.csdata,"",@progbits
; Kernel info:
; codeLenInByte = 6336
; NumSgprs: 32
; NumVgprs: 128
; NumAgprs: 0
; TotalNumVgprs: 128
; ScratchSize: 56
; MemoryBound: 0
; FloatMode: 240
; IeeeMode: 1
; LDSByteSize: 768 bytes/workgroup (compile time only)
; SGPRBlocks: 3
; VGPRBlocks: 15
; NumSGPRsForWavesPerEU: 32
; NumVGPRsForWavesPerEU: 128
; AccumOffset: 128
; Occupancy: 4
; WaveLimiterHint : 1
; COMPUTE_PGM_RSRC2:SCRATCH_EN: 1
; COMPUTE_PGM_RSRC2:USER_SGPR: 6
; COMPUTE_PGM_RSRC2:TRAP_HANDLER: 0
; COMPUTE_PGM_RSRC2:TGID_X_EN: 1
; COMPUTE_PGM_RSRC2:TGID_Y_EN: 0
; COMPUTE_PGM_RSRC2:TGID_Z_EN: 0
; COMPUTE_PGM_RSRC2:TIDIG_COMP_CNT: 0
; COMPUTE_PGM_RSRC3_GFX90A:ACCUM_OFFSET: 31
; COMPUTE_PGM_RSRC3_GFX90A:TG_SPLIT: 0
	.section	.text._ZL21gated_linear_attn_f32ILi128EEviiiifPKfS1_S1_S1_S1_Pf,"axG",@progbits,_ZL21gated_linear_attn_f32ILi128EEviiiifPKfS1_S1_S1_S1_Pf,comdat
	.globl	_ZL21gated_linear_attn_f32ILi128EEviiiifPKfS1_S1_S1_S1_Pf ; -- Begin function _ZL21gated_linear_attn_f32ILi128EEviiiifPKfS1_S1_S1_S1_Pf
	.p2align	8
	.type	_ZL21gated_linear_attn_f32ILi128EEviiiifPKfS1_S1_S1_S1_Pf,@function
_ZL21gated_linear_attn_f32ILi128EEviiiifPKfS1_S1_S1_S1_Pf: ; @_ZL21gated_linear_attn_f32ILi128EEviiiifPKfS1_S1_S1_S1_Pf
; %bb.0:
	s_load_dwordx4 s[12:15], s[4:5], 0x0
	s_load_dwordx4 s[8:11], s[4:5], 0x38
	s_mov_b64 s[22:23], s[2:3]
	s_mov_b64 s[20:21], s[0:1]
	s_add_u32 s20, s20, s7
	s_addc_u32 s21, s21, 0
	s_waitcnt lgkmcnt(0)
	s_abs_i32 s2, s15
	v_mov_b32_e32 v8, v0
	v_cvt_f32_u32_e32 v0, s2
	s_sub_i32 s3, 0, s2
	s_abs_i32 s1, s6
	s_xor_b32 s0, s6, s15
	v_rcp_iflag_f32_e32 v0, v0
	s_ashr_i32 s0, s0, 31
	v_mov_b32_e32 v2, s9
	v_mov_b32_e32 v3, s9
	v_mul_f32_e32 v0, 0x4f7ffffe, v0
	v_cvt_u32_f32_e32 v0, v0
	v_readfirstlane_b32 s7, v0
	s_mul_i32 s3, s3, s7
	s_mul_hi_u32 s3, s7, s3
	s_add_i32 s7, s7, s3
	s_mul_hi_u32 s3, s1, s7
	s_mul_i32 s7, s3, s2
	s_sub_i32 s1, s1, s7
	s_add_i32 s7, s3, 1
	s_sub_i32 s16, s1, s2
	s_cmp_ge_u32 s1, s2
	s_cselect_b32 s3, s7, s3
	s_cselect_b32 s1, s16, s1
	s_add_i32 s7, s3, 1
	s_cmp_ge_u32 s1, s2
	s_cselect_b32 s1, s7, s3
	s_xor_b32 s1, s1, s0
	s_sub_i32 s0, s1, s0
	s_mul_i32 s1, s0, s15
	s_sub_i32 s1, s6, s1
	s_mul_i32 s2, s14, s0
	s_lshl_b32 s2, s2, 7
	s_lshl_b32 s3, s1, 14
	s_add_i32 s3, s3, s2
	v_add_u32_e32 v6, s3, v8
	v_ashrrev_i32_e32 v7, 31, v6
	v_lshlrev_b64 v[0:1], 2, v[6:7]
	v_add_co_u32_e32 v0, vcc, s8, v0
	v_addc_co_u32_e32 v1, vcc, v2, v1, vcc
	global_load_dword v108, v[0:1], off
	global_load_dword v109, v[0:1], off offset:512
	global_load_dword v102, v[0:1], off offset:1024
	;; [unrolled: 1-line block ×7, first 2 shown]
	v_add_u32_e32 v0, 0x400, v6
	v_ashrrev_i32_e32 v1, 31, v0
	v_lshlrev_b64 v[0:1], 2, v[0:1]
	v_add_co_u32_e32 v0, vcc, s8, v0
	v_addc_co_u32_e32 v1, vcc, v2, v1, vcc
	global_load_dword v4, v[0:1], off
	v_add_u32_e32 v0, 0x480, v6
	v_ashrrev_i32_e32 v1, 31, v0
	v_lshlrev_b64 v[0:1], 2, v[0:1]
	v_add_co_u32_e32 v0, vcc, s8, v0
	v_addc_co_u32_e32 v1, vcc, v2, v1, vcc
	global_load_dword v5, v[0:1], off
	v_add_u32_e32 v0, 0x500, v6
	v_ashrrev_i32_e32 v1, 31, v0
	v_lshlrev_b64 v[0:1], 2, v[0:1]
	v_add_co_u32_e32 v0, vcc, s8, v0
	v_addc_co_u32_e32 v1, vcc, v2, v1, vcc
	s_abs_i32 s6, s12
	s_sub_i32 s7, 0, s6
	s_abs_i32 s3, s13
	s_xor_b32 s2, s13, s12
	s_ashr_i32 s2, s2, 31
	s_waitcnt vmcnt(0)
	buffer_store_dword v4, off, s[20:23], 0 offset:48 ; 4-byte Folded Spill
	s_nop 0
	buffer_store_dword v5, off, s[20:23], 0 offset:52 ; 4-byte Folded Spill
	global_load_dword v76, v[0:1], off
	v_add_u32_e32 v0, 0x580, v6
	v_ashrrev_i32_e32 v1, 31, v0
	v_lshlrev_b64 v[0:1], 2, v[0:1]
	v_add_co_u32_e32 v0, vcc, s8, v0
	v_addc_co_u32_e32 v1, vcc, v2, v1, vcc
	global_load_dword v77, v[0:1], off
	v_add_u32_e32 v0, 0x600, v6
	v_ashrrev_i32_e32 v1, 31, v0
	v_lshlrev_b64 v[0:1], 2, v[0:1]
	v_add_co_u32_e32 v0, vcc, s8, v0
	v_addc_co_u32_e32 v1, vcc, v2, v1, vcc
	;; [unrolled: 6-line block ×4, first 2 shown]
	s_waitcnt vmcnt(0)
	buffer_store_dword v4, off, s[20:23], 0 offset:72 ; 4-byte Folded Spill
	s_nop 0
	buffer_store_dword v5, off, s[20:23], 0 offset:76 ; 4-byte Folded Spill
	global_load_dword v4, v[0:1], off
	v_add_u32_e32 v0, 0x780, v6
	v_ashrrev_i32_e32 v1, 31, v0
	v_lshlrev_b64 v[0:1], 2, v[0:1]
	v_add_co_u32_e32 v0, vcc, s8, v0
	v_addc_co_u32_e32 v1, vcc, v2, v1, vcc
	global_load_dword v5, v[0:1], off
	v_add_u32_e32 v0, 0x800, v6
	v_ashrrev_i32_e32 v1, 31, v0
	v_lshlrev_b64 v[0:1], 2, v[0:1]
	v_add_co_u32_e32 v0, vcc, s8, v0
	v_addc_co_u32_e32 v1, vcc, v2, v1, vcc
	s_waitcnt vmcnt(0)
	buffer_store_dword v4, off, s[20:23], 0 offset:56 ; 4-byte Folded Spill
	s_nop 0
	buffer_store_dword v5, off, s[20:23], 0 offset:60 ; 4-byte Folded Spill
	global_load_dword v10, v[0:1], off
	v_add_u32_e32 v0, 0x880, v6
	v_ashrrev_i32_e32 v1, 31, v0
	v_lshlrev_b64 v[0:1], 2, v[0:1]
	v_add_co_u32_e32 v0, vcc, s8, v0
	v_addc_co_u32_e32 v1, vcc, v2, v1, vcc
	global_load_dword v11, v[0:1], off
	v_add_u32_e32 v0, 0x900, v6
	v_ashrrev_i32_e32 v1, 31, v0
	v_lshlrev_b64 v[0:1], 2, v[0:1]
	v_add_co_u32_e32 v0, vcc, s8, v0
	v_addc_co_u32_e32 v1, vcc, v2, v1, vcc
	;; [unrolled: 6-line block ×6, first 2 shown]
	s_waitcnt vmcnt(0)
	buffer_store_dword v4, off, s[20:23], 0 offset:32 ; 4-byte Folded Spill
	s_nop 0
	buffer_store_dword v5, off, s[20:23], 0 offset:36 ; 4-byte Folded Spill
	global_load_dword v30, v[0:1], off
	v_add_u32_e32 v0, 0xb80, v6
	v_ashrrev_i32_e32 v1, 31, v0
	v_lshlrev_b64 v[0:1], 2, v[0:1]
	v_add_co_u32_e32 v0, vcc, s8, v0
	v_addc_co_u32_e32 v1, vcc, v2, v1, vcc
	global_load_dword v31, v[0:1], off
	v_add_u32_e32 v0, 0xc00, v6
	v_ashrrev_i32_e32 v1, 31, v0
	v_lshlrev_b64 v[0:1], 2, v[0:1]
	v_add_co_u32_e32 v0, vcc, s8, v0
	v_addc_co_u32_e32 v1, vcc, v2, v1, vcc
	global_load_dword v4, v[0:1], off
	v_add_u32_e32 v0, 0xc80, v6
	v_ashrrev_i32_e32 v1, 31, v0
	v_lshlrev_b64 v[0:1], 2, v[0:1]
	v_add_co_u32_e32 v0, vcc, s8, v0
	v_addc_co_u32_e32 v1, vcc, v2, v1, vcc
	global_load_dword v5, v[0:1], off
	v_add_u32_e32 v0, 0xd00, v6
	v_ashrrev_i32_e32 v1, 31, v0
	v_lshlrev_b64 v[0:1], 2, v[0:1]
	v_add_co_u32_e32 v0, vcc, s8, v0
	v_addc_co_u32_e32 v1, vcc, v2, v1, vcc
	s_waitcnt vmcnt(0)
	buffer_store_dword v4, off, s[20:23], 0 offset:40 ; 4-byte Folded Spill
	s_nop 0
	buffer_store_dword v5, off, s[20:23], 0 offset:44 ; 4-byte Folded Spill
	global_load_dword v66, v[0:1], off
	v_add_u32_e32 v0, 0xd80, v6
	v_ashrrev_i32_e32 v1, 31, v0
	v_lshlrev_b64 v[0:1], 2, v[0:1]
	v_add_co_u32_e32 v0, vcc, s8, v0
	v_addc_co_u32_e32 v1, vcc, v2, v1, vcc
	global_load_dword v67, v[0:1], off
	v_add_u32_e32 v0, 0xe00, v6
	v_ashrrev_i32_e32 v1, 31, v0
	v_lshlrev_b64 v[0:1], 2, v[0:1]
	v_add_co_u32_e32 v0, vcc, s8, v0
	v_addc_co_u32_e32 v1, vcc, v2, v1, vcc
	global_load_dword v4, v[0:1], off
	v_add_u32_e32 v0, 0xe80, v6
	v_ashrrev_i32_e32 v1, 31, v0
	v_lshlrev_b64 v[0:1], 2, v[0:1]
	v_add_co_u32_e32 v0, vcc, s8, v0
	v_addc_co_u32_e32 v1, vcc, v2, v1, vcc
	global_load_dword v5, v[0:1], off
	v_add_u32_e32 v0, 0xf00, v6
	v_ashrrev_i32_e32 v1, 31, v0
	v_lshlrev_b64 v[0:1], 2, v[0:1]
	v_add_co_u32_e32 v0, vcc, s8, v0
	v_addc_co_u32_e32 v1, vcc, v2, v1, vcc
	;; [unrolled: 28-line block ×3, first 2 shown]
	global_load_dword v42, v[0:1], off
	v_add_u32_e32 v0, 0x1180, v6
	v_ashrrev_i32_e32 v1, 31, v0
	v_lshlrev_b64 v[0:1], 2, v[0:1]
	v_add_co_u32_e32 v0, vcc, s8, v0
	v_addc_co_u32_e32 v1, vcc, v2, v1, vcc
	global_load_dword v43, v[0:1], off
	v_add_u32_e32 v0, 0x1200, v6
	v_ashrrev_i32_e32 v1, 31, v0
	v_lshlrev_b64 v[0:1], 2, v[0:1]
	v_add_co_u32_e32 v0, vcc, s8, v0
	v_addc_co_u32_e32 v1, vcc, v2, v1, vcc
	global_load_dword v4, v[0:1], off
	v_add_u32_e32 v0, 0x1280, v6
	v_ashrrev_i32_e32 v1, 31, v0
	v_lshlrev_b64 v[0:1], 2, v[0:1]
	v_add_co_u32_e32 v0, vcc, s8, v0
	v_addc_co_u32_e32 v1, vcc, v2, v1, vcc
	global_load_dword v5, v[0:1], off
	v_add_u32_e32 v0, 0x1300, v6
	v_ashrrev_i32_e32 v1, 31, v0
	v_lshlrev_b64 v[0:1], 2, v[0:1]
	v_add_co_u32_e32 v0, vcc, s8, v0
	s_waitcnt vmcnt(0)
	buffer_store_dword v4, off, s[20:23], 0 offset:8 ; 4-byte Folded Spill
	s_nop 0
	buffer_store_dword v5, off, s[20:23], 0 offset:12 ; 4-byte Folded Spill
	v_addc_co_u32_e32 v1, vcc, v2, v1, vcc
	global_load_dword v34, v[0:1], off
	v_add_u32_e32 v0, 0x1380, v6
	v_ashrrev_i32_e32 v1, 31, v0
	v_lshlrev_b64 v[0:1], 2, v[0:1]
	v_add_co_u32_e32 v0, vcc, s8, v0
	v_addc_co_u32_e32 v1, vcc, v2, v1, vcc
	global_load_dword v35, v[0:1], off
	v_add_u32_e32 v0, 0x1400, v6
	v_ashrrev_i32_e32 v1, 31, v0
	v_lshlrev_b64 v[0:1], 2, v[0:1]
	v_add_co_u32_e32 v0, vcc, s8, v0
	;; [unrolled: 6-line block ×8, first 2 shown]
	s_waitcnt vmcnt(0)
	buffer_store_dword v4, off, s[20:23], 0 offset:16 ; 4-byte Folded Spill
	s_nop 0
	buffer_store_dword v5, off, s[20:23], 0 offset:20 ; 4-byte Folded Spill
	v_addc_co_u32_e32 v1, vcc, v2, v1, vcc
	global_load_dword v4, v[0:1], off
	v_add_u32_e32 v0, 0x1780, v6
	v_ashrrev_i32_e32 v1, 31, v0
	v_lshlrev_b64 v[0:1], 2, v[0:1]
	v_add_co_u32_e32 v0, vcc, s8, v0
	v_addc_co_u32_e32 v1, vcc, v2, v1, vcc
	global_load_dword v5, v[0:1], off
	v_add_u32_e32 v0, 0x1800, v6
	v_ashrrev_i32_e32 v1, 31, v0
	v_lshlrev_b64 v[0:1], 2, v[0:1]
	v_add_co_u32_e32 v0, vcc, s8, v0
	s_waitcnt vmcnt(0)
	buffer_store_dword v4, off, s[20:23], 0 offset:24 ; 4-byte Folded Spill
	s_nop 0
	buffer_store_dword v5, off, s[20:23], 0 offset:28 ; 4-byte Folded Spill
	v_addc_co_u32_e32 v1, vcc, v2, v1, vcc
	global_load_dword v24, v[0:1], off
	v_add_u32_e32 v0, 0x1880, v6
	v_ashrrev_i32_e32 v1, 31, v0
	v_lshlrev_b64 v[0:1], 2, v[0:1]
	v_add_co_u32_e32 v0, vcc, s8, v0
	v_addc_co_u32_e32 v1, vcc, v2, v1, vcc
	global_load_dword v25, v[0:1], off
	v_add_u32_e32 v0, 0x1900, v6
	v_ashrrev_i32_e32 v1, 31, v0
	v_lshlrev_b64 v[0:1], 2, v[0:1]
	v_add_co_u32_e32 v0, vcc, s8, v0
	;; [unrolled: 6-line block ×8, first 2 shown]
	s_waitcnt vmcnt(0)
	buffer_store_dword v4, off, s[20:23], 0 ; 4-byte Folded Spill
	s_nop 0
	buffer_store_dword v5, off, s[20:23], 0 offset:4 ; 4-byte Folded Spill
	v_addc_co_u32_e32 v1, vcc, v2, v1, vcc
	global_load_dword v72, v[0:1], off
	v_add_u32_e32 v0, 0x1c80, v6
	v_ashrrev_i32_e32 v1, 31, v0
	v_lshlrev_b64 v[0:1], 2, v[0:1]
	v_add_co_u32_e32 v0, vcc, s8, v0
	v_addc_co_u32_e32 v1, vcc, v2, v1, vcc
	global_load_dword v73, v[0:1], off
	v_add_u32_e32 v0, 0x1d00, v6
	v_ashrrev_i32_e32 v1, 31, v0
	v_lshlrev_b64 v[0:1], 2, v[0:1]
	v_add_co_u32_e32 v0, vcc, s8, v0
	;; [unrolled: 6-line block ×30, first 2 shown]
	s_waitcnt vmcnt(0)
	buffer_store_dword v4, off, s[20:23], 0 offset:80 ; 4-byte Folded Spill
	s_nop 0
	buffer_store_dword v5, off, s[20:23], 0 offset:84 ; 4-byte Folded Spill
	v_addc_co_u32_e32 v1, vcc, v2, v1, vcc
	global_load_dword v88, v[0:1], off
	v_add_u32_e32 v0, 0x2b80, v6
	v_ashrrev_i32_e32 v1, 31, v0
	v_lshlrev_b64 v[0:1], 2, v[0:1]
	v_add_co_u32_e32 v0, vcc, s8, v0
	v_addc_co_u32_e32 v1, vcc, v2, v1, vcc
	global_load_dword v89, v[0:1], off
	v_add_u32_e32 v0, 0x2c00, v6
	v_ashrrev_i32_e32 v1, 31, v0
	v_lshlrev_b64 v[0:1], 2, v[0:1]
	v_add_co_u32_e32 v0, vcc, s8, v0
	v_addc_co_u32_e32 v1, vcc, v2, v1, vcc
	global_load_dword v70, v[0:1], off
	v_add_u32_e32 v0, 0x2c80, v6
	v_ashrrev_i32_e32 v1, 31, v0
	v_lshlrev_b64 v[0:1], 2, v[0:1]
	v_add_co_u32_e32 v0, vcc, s8, v0
	v_addc_co_u32_e32 v1, vcc, v2, v1, vcc
	global_load_dword v71, v[0:1], off
	v_add_u32_e32 v0, 0x2d00, v6
	v_ashrrev_i32_e32 v1, 31, v0
	v_lshlrev_b64 v[0:1], 2, v[0:1]
	v_add_co_u32_e32 v0, vcc, s8, v0
	v_addc_co_u32_e32 v1, vcc, v2, v1, vcc
	global_load_dword v98, v[0:1], off
	v_add_u32_e32 v0, 0x2d80, v6
	v_ashrrev_i32_e32 v1, 31, v0
	v_lshlrev_b64 v[0:1], 2, v[0:1]
	v_add_co_u32_e32 v0, vcc, s8, v0
	v_addc_co_u32_e32 v1, vcc, v2, v1, vcc
	global_load_dword v99, v[0:1], off
	v_add_u32_e32 v0, 0x2e00, v6
	v_ashrrev_i32_e32 v1, 31, v0
	v_lshlrev_b64 v[0:1], 2, v[0:1]
	v_add_co_u32_e32 v0, vcc, s8, v0
	v_addc_co_u32_e32 v1, vcc, v2, v1, vcc
	global_load_dword v86, v[0:1], off
	v_add_u32_e32 v0, 0x2e80, v6
	v_ashrrev_i32_e32 v1, 31, v0
	v_lshlrev_b64 v[0:1], 2, v[0:1]
	v_add_co_u32_e32 v0, vcc, s8, v0
	v_addc_co_u32_e32 v1, vcc, v2, v1, vcc
	global_load_dword v87, v[0:1], off
	v_add_u32_e32 v0, 0x2f00, v6
	v_ashrrev_i32_e32 v1, 31, v0
	v_lshlrev_b64 v[0:1], 2, v[0:1]
	v_add_co_u32_e32 v0, vcc, s8, v0
	v_addc_co_u32_e32 v1, vcc, v2, v1, vcc
	global_load_dword v100, v[0:1], off
	v_add_u32_e32 v0, 0x2f80, v6
	v_ashrrev_i32_e32 v1, 31, v0
	v_lshlrev_b64 v[0:1], 2, v[0:1]
	v_add_co_u32_e32 v0, vcc, s8, v0
	v_addc_co_u32_e32 v1, vcc, v2, v1, vcc
	global_load_dword v101, v[0:1], off
	v_add_u32_e32 v0, 0x3000, v6
	v_ashrrev_i32_e32 v1, 31, v0
	v_lshlrev_b64 v[0:1], 2, v[0:1]
	v_add_co_u32_e32 v0, vcc, s8, v0
	v_addc_co_u32_e32 v1, vcc, v2, v1, vcc
	global_load_dword v90, v[0:1], off
	v_add_u32_e32 v0, 0x3080, v6
	v_ashrrev_i32_e32 v1, 31, v0
	v_lshlrev_b64 v[0:1], 2, v[0:1]
	v_add_co_u32_e32 v0, vcc, s8, v0
	v_addc_co_u32_e32 v1, vcc, v2, v1, vcc
	global_load_dword v91, v[0:1], off
	v_add_u32_e32 v0, 0x3100, v6
	v_ashrrev_i32_e32 v1, 31, v0
	v_lshlrev_b64 v[0:1], 2, v[0:1]
	v_add_co_u32_e32 v0, vcc, s8, v0
	v_addc_co_u32_e32 v1, vcc, v2, v1, vcc
	global_load_dword v110, v[0:1], off
	v_add_u32_e32 v0, 0x3180, v6
	v_ashrrev_i32_e32 v1, 31, v0
	v_lshlrev_b64 v[0:1], 2, v[0:1]
	v_add_co_u32_e32 v0, vcc, s8, v0
	v_addc_co_u32_e32 v1, vcc, v2, v1, vcc
	global_load_dword v111, v[0:1], off
	v_add_u32_e32 v0, 0x3200, v6
	v_ashrrev_i32_e32 v1, 31, v0
	v_lshlrev_b64 v[0:1], 2, v[0:1]
	v_add_co_u32_e32 v0, vcc, s8, v0
	v_addc_co_u32_e32 v1, vcc, v2, v1, vcc
	global_load_dword v96, v[0:1], off
	v_add_u32_e32 v0, 0x3280, v6
	v_ashrrev_i32_e32 v1, 31, v0
	v_lshlrev_b64 v[0:1], 2, v[0:1]
	v_add_co_u32_e32 v0, vcc, s8, v0
	v_addc_co_u32_e32 v1, vcc, v2, v1, vcc
	global_load_dword v97, v[0:1], off
	v_add_u32_e32 v0, 0x3300, v6
	v_ashrrev_i32_e32 v1, 31, v0
	v_lshlrev_b64 v[0:1], 2, v[0:1]
	v_add_co_u32_e32 v0, vcc, s8, v0
	v_addc_co_u32_e32 v1, vcc, v2, v1, vcc
	global_load_dword v112, v[0:1], off
	v_add_u32_e32 v0, 0x3380, v6
	v_ashrrev_i32_e32 v1, 31, v0
	v_lshlrev_b64 v[0:1], 2, v[0:1]
	v_add_co_u32_e32 v0, vcc, s8, v0
	v_addc_co_u32_e32 v1, vcc, v2, v1, vcc
	global_load_dword v113, v[0:1], off
	v_add_u32_e32 v0, 0x3400, v6
	v_ashrrev_i32_e32 v1, 31, v0
	v_lshlrev_b64 v[0:1], 2, v[0:1]
	v_add_co_u32_e32 v0, vcc, s8, v0
	v_addc_co_u32_e32 v1, vcc, v2, v1, vcc
	global_load_dword v104, v[0:1], off
	v_add_u32_e32 v0, 0x3480, v6
	v_ashrrev_i32_e32 v1, 31, v0
	v_lshlrev_b64 v[0:1], 2, v[0:1]
	v_add_co_u32_e32 v0, vcc, s8, v0
	v_addc_co_u32_e32 v1, vcc, v2, v1, vcc
	global_load_dword v105, v[0:1], off
	v_add_u32_e32 v0, 0x3500, v6
	v_ashrrev_i32_e32 v1, 31, v0
	v_lshlrev_b64 v[0:1], 2, v[0:1]
	v_add_co_u32_e32 v0, vcc, s8, v0
	v_addc_co_u32_e32 v1, vcc, v2, v1, vcc
	global_load_dword v118, v[0:1], off
	v_add_u32_e32 v0, 0x3580, v6
	v_ashrrev_i32_e32 v1, 31, v0
	v_lshlrev_b64 v[0:1], 2, v[0:1]
	v_add_co_u32_e32 v0, vcc, s8, v0
	v_addc_co_u32_e32 v1, vcc, v2, v1, vcc
	global_load_dword v119, v[0:1], off
	v_add_u32_e32 v0, 0x3600, v6
	v_ashrrev_i32_e32 v1, 31, v0
	v_lshlrev_b64 v[0:1], 2, v[0:1]
	v_add_co_u32_e32 v0, vcc, s8, v0
	v_addc_co_u32_e32 v1, vcc, v2, v1, vcc
	global_load_dword v106, v[0:1], off
	v_add_u32_e32 v0, 0x3680, v6
	v_ashrrev_i32_e32 v1, 31, v0
	v_lshlrev_b64 v[0:1], 2, v[0:1]
	v_add_co_u32_e32 v0, vcc, s8, v0
	v_addc_co_u32_e32 v1, vcc, v2, v1, vcc
	global_load_dword v107, v[0:1], off
	v_add_u32_e32 v0, 0x3700, v6
	v_ashrrev_i32_e32 v1, 31, v0
	v_lshlrev_b64 v[0:1], 2, v[0:1]
	v_add_co_u32_e32 v0, vcc, s8, v0
	v_addc_co_u32_e32 v1, vcc, v2, v1, vcc
	global_load_dword v124, v[0:1], off
	v_add_u32_e32 v0, 0x3780, v6
	v_ashrrev_i32_e32 v1, 31, v0
	v_lshlrev_b64 v[0:1], 2, v[0:1]
	v_add_co_u32_e32 v0, vcc, s8, v0
	v_addc_co_u32_e32 v1, vcc, v2, v1, vcc
	global_load_dword v125, v[0:1], off
	v_add_u32_e32 v0, 0x3800, v6
	v_ashrrev_i32_e32 v1, 31, v0
	v_lshlrev_b64 v[0:1], 2, v[0:1]
	v_add_co_u32_e32 v0, vcc, s8, v0
	v_addc_co_u32_e32 v1, vcc, v2, v1, vcc
	global_load_dword v114, v[0:1], off
	v_add_u32_e32 v0, 0x3880, v6
	v_ashrrev_i32_e32 v1, 31, v0
	v_lshlrev_b64 v[0:1], 2, v[0:1]
	v_add_co_u32_e32 v0, vcc, s8, v0
	v_addc_co_u32_e32 v1, vcc, v2, v1, vcc
	global_load_dword v115, v[0:1], off
	v_add_u32_e32 v0, 0x3900, v6
	v_ashrrev_i32_e32 v1, 31, v0
	v_lshlrev_b64 v[0:1], 2, v[0:1]
	v_add_co_u32_e32 v0, vcc, s8, v0
	v_addc_co_u32_e32 v1, vcc, v2, v1, vcc
	global_load_dword v126, v[0:1], off
	v_add_u32_e32 v0, 0x3980, v6
	v_ashrrev_i32_e32 v1, 31, v0
	v_lshlrev_b64 v[0:1], 2, v[0:1]
	v_add_co_u32_e32 v0, vcc, s8, v0
	v_addc_co_u32_e32 v1, vcc, v2, v1, vcc
	global_load_dword v127, v[0:1], off
	v_add_u32_e32 v0, 0x3a00, v6
	v_ashrrev_i32_e32 v1, 31, v0
	v_lshlrev_b64 v[0:1], 2, v[0:1]
	v_add_co_u32_e32 v0, vcc, s8, v0
	v_addc_co_u32_e32 v1, vcc, v2, v1, vcc
	global_load_dword v116, v[0:1], off
	v_add_u32_e32 v0, 0x3a80, v6
	v_ashrrev_i32_e32 v1, 31, v0
	v_lshlrev_b64 v[0:1], 2, v[0:1]
	v_add_co_u32_e32 v0, vcc, s8, v0
	v_addc_co_u32_e32 v1, vcc, v2, v1, vcc
	global_load_dword v117, v[0:1], off
	v_add_u32_e32 v0, 0x3b00, v6
	v_ashrrev_i32_e32 v1, 31, v0
	v_lshlrev_b64 v[0:1], 2, v[0:1]
	v_add_co_u32_e32 v0, vcc, s8, v0
	v_addc_co_u32_e32 v1, vcc, v2, v1, vcc
	global_load_dword v20, v[0:1], off
	v_add_u32_e32 v0, 0x3b80, v6
	v_ashrrev_i32_e32 v1, 31, v0
	v_lshlrev_b64 v[0:1], 2, v[0:1]
	v_add_co_u32_e32 v0, vcc, s8, v0
	v_addc_co_u32_e32 v1, vcc, v2, v1, vcc
	global_load_dword v21, v[0:1], off
	v_add_u32_e32 v0, 0x3c00, v6
	v_ashrrev_i32_e32 v1, 31, v0
	v_lshlrev_b64 v[0:1], 2, v[0:1]
	v_add_co_u32_e32 v0, vcc, s8, v0
	v_addc_co_u32_e32 v1, vcc, v2, v1, vcc
	global_load_dword v78, v[0:1], off
	v_add_u32_e32 v0, 0x3c80, v6
	v_ashrrev_i32_e32 v1, 31, v0
	v_lshlrev_b64 v[0:1], 2, v[0:1]
	v_add_co_u32_e32 v0, vcc, s8, v0
	v_addc_co_u32_e32 v1, vcc, v2, v1, vcc
	global_load_dword v79, v[0:1], off
	v_add_u32_e32 v0, 0x3d00, v6
	v_ashrrev_i32_e32 v1, 31, v0
	v_lshlrev_b64 v[0:1], 2, v[0:1]
	v_add_co_u32_e32 v0, vcc, s8, v0
	v_addc_co_u32_e32 v1, vcc, v2, v1, vcc
	global_load_dword v54, v[0:1], off
	v_add_u32_e32 v0, 0x3d80, v6
	v_ashrrev_i32_e32 v1, 31, v0
	v_lshlrev_b64 v[0:1], 2, v[0:1]
	v_add_co_u32_e32 v0, vcc, s8, v0
	v_addc_co_u32_e32 v1, vcc, v3, v1, vcc
	global_load_dword v55, v[0:1], off
	v_add_u32_e32 v0, 0x3e00, v6
	v_ashrrev_i32_e32 v1, 31, v0
	v_lshlrev_b64 v[0:1], 2, v[0:1]
	v_add_co_u32_e32 v0, vcc, s8, v0
	v_mov_b32_e32 v4, s9
	v_addc_co_u32_e32 v1, vcc, v4, v1, vcc
	global_load_dword v74, v[0:1], off
	v_add_u32_e32 v0, 0x3e80, v6
	v_ashrrev_i32_e32 v1, 31, v0
	v_lshlrev_b64 v[0:1], 2, v[0:1]
	v_add_co_u32_e32 v0, vcc, s8, v0
	v_addc_co_u32_e32 v1, vcc, v4, v1, vcc
	global_load_dword v75, v[0:1], off
	v_add_u32_e32 v0, 0x3f00, v6
	v_ashrrev_i32_e32 v1, 31, v0
	v_lshlrev_b64 v[0:1], 2, v[0:1]
	v_add_co_u32_e32 v0, vcc, s8, v0
	v_addc_co_u32_e32 v1, vcc, v4, v1, vcc
	v_add_u32_e32 v4, 0x3f80, v6
	v_ashrrev_i32_e32 v5, 31, v4
	v_lshlrev_b64 v[4:5], 2, v[4:5]
	global_load_dword v62, v[0:1], off
	v_add_co_u32_e32 v4, vcc, s8, v4
	v_mov_b32_e32 v1, s9
	v_addc_co_u32_e32 v5, vcc, v1, v5, vcc
	global_load_dword v63, v[4:5], off
	v_cvt_f32_u32_e32 v4, s6
	v_rcp_iflag_f32_e32 v4, v4
	v_mul_f32_e32 v4, 0x4f7ffffe, v4
	v_cvt_u32_f32_e32 v4, v4
	v_readfirstlane_b32 s8, v4
	s_mul_i32 s7, s7, s8
	s_mul_hi_u32 s7, s8, s7
	s_add_i32 s8, s8, s7
	s_mul_hi_u32 s7, s3, s8
	s_mul_i32 s8, s7, s6
	s_sub_i32 s3, s3, s8
	s_add_i32 s8, s7, 1
	s_sub_i32 s9, s3, s6
	s_cmp_ge_u32 s3, s6
	s_cselect_b32 s7, s8, s7
	s_cselect_b32 s3, s9, s3
	s_add_i32 s8, s7, 1
	s_cmp_ge_u32 s3, s6
	s_cselect_b32 s3, s8, s7
	s_xor_b32 s3, s3, s2
	s_sub_i32 s2, s3, s2
	s_mul_i32 s2, s2, s14
	s_mul_i32 s3, s2, s0
	s_add_i32 s0, s0, 1
	v_lshl_add_u32 v4, s1, 7, v8
	s_mul_i32 s2, s2, s0
	v_add_u32_e32 v18, s3, v4
	v_add_u32_e32 v5, s2, v4
	v_cmp_lt_i32_e32 vcc, v18, v5
	s_and_saveexec_b64 s[8:9], vcc
	s_cbranch_execz .LBB1_4
; %bb.1:
	buffer_store_dword v6, off, s[20:23], 0 offset:244 ; 4-byte Folded Spill
	s_nop 0
	buffer_store_dword v7, off, s[20:23], 0 offset:248 ; 4-byte Folded Spill
	s_load_dword s12, s[4:5], 0x10
	s_nop 0
	s_load_dwordx8 s[0:7], s[4:5], 0x18
	v_lshlrev_b32_e32 v0, 2, v8
	v_add_u32_e32 v1, 0x200, v0
	v_ashrrev_i32_e32 v19, 31, v18
	s_ashr_i32 s15, s14, 31
	buffer_store_dword v1, off, s[20:23], 0 offset:236 ; 4-byte Folded Spill
	buffer_store_dword v0, off, s[20:23], 0 offset:232 ; 4-byte Folded Spill
	v_add_u32_e32 v0, 0x400, v0
	v_lshlrev_b64 v[6:7], 2, v[18:19]
	s_lshl_b64 s[18:19], s[14:15], 2
	s_mov_b64 s[16:17], 0
	v_mov_b32_e32 v19, 0
	v_pk_mov_b32 v[50:51], v[10:11], v[10:11] op_sel:[0,1]
	v_pk_mov_b32 v[2:3], v[12:13], v[12:13] op_sel:[0,1]
	buffer_store_dword v0, off, s[20:23], 0 offset:240 ; 4-byte Folded Spill
.LBB1_2:                                ; =>This Inner Loop Header: Depth=1
	s_waitcnt lgkmcnt(0)
	v_mov_b32_e32 v4, s1
	v_add_co_u32_e32 v8, vcc, s0, v6
	v_addc_co_u32_e32 v9, vcc, v4, v7, vcc
	v_mov_b32_e32 v4, s5
	v_add_co_u32_e32 v10, vcc, s4, v6
	v_addc_co_u32_e32 v11, vcc, v4, v7, vcc
	;; [unrolled: 3-line block ×3, first 2 shown]
	s_barrier
	global_load_dword v4, v[8:9], off
	s_nop 0
	global_load_dword v8, v[10:11], off
	global_load_dword v9, v[12:13], off
	buffer_load_dword v0, off, s[20:23], 0 offset:232 ; 4-byte Folded Reload
	s_waitcnt vmcnt(9)
	v_pk_mov_b32 v[64:65], v[62:63], v[62:63] op_sel:[0,1]
	v_pk_mov_b32 v[62:63], v[36:37], v[36:37] op_sel:[0,1]
	;; [unrolled: 1-line block ×5, first 2 shown]
	v_add_u32_e32 v18, s14, v18
	s_waitcnt vmcnt(0)
	ds_write_b32 v0, v4
	buffer_load_dword v0, off, s[20:23], 0 offset:236 ; 4-byte Folded Reload
	v_mov_b32_e32 v4, s3
	s_waitcnt vmcnt(0)
	ds_write_b32 v0, v8
	buffer_load_dword v0, off, s[20:23], 0 offset:240 ; 4-byte Folded Reload
	s_waitcnt vmcnt(0)
	ds_write_b32 v0, v9
	s_waitcnt lgkmcnt(0)
	s_barrier
	ds_read_b128 v[8:11], v19 offset:1024
	s_waitcnt lgkmcnt(0)
	v_pk_mul_f32 v[108:109], v[108:109], v[8:9]
	v_pk_mul_f32 v[102:103], v[102:103], v[10:11]
	ds_read_b128 v[8:11], v19 offset:1040
	s_waitcnt lgkmcnt(0)
	v_pk_mul_f32 v[92:93], v[92:93], v[8:9]
	v_pk_mul_f32 v[28:29], v[28:29], v[10:11]
	ds_read_b128 v[8:11], v19 offset:1056
	buffer_load_dword v0, off, s[20:23], 0 offset:48 ; 4-byte Folded Reload
	buffer_load_dword v1, off, s[20:23], 0 offset:52 ; 4-byte Folded Reload
	s_waitcnt lgkmcnt(0)
	v_pk_mul_f32 v[76:77], v[76:77], v[10:11]
	s_waitcnt vmcnt(0)
	v_pk_mul_f32 v[0:1], v[0:1], v[8:9]
	buffer_store_dword v0, off, s[20:23], 0 offset:48 ; 4-byte Folded Spill
	s_nop 0
	buffer_store_dword v1, off, s[20:23], 0 offset:52 ; 4-byte Folded Spill
	ds_read_b128 v[8:11], v19 offset:1072
	buffer_load_dword v0, off, s[20:23], 0 offset:72 ; 4-byte Folded Reload
	buffer_load_dword v1, off, s[20:23], 0 offset:76 ; 4-byte Folded Reload
	s_waitcnt vmcnt(0) lgkmcnt(0)
	v_pk_mul_f32 v[0:1], v[0:1], v[8:9]
	buffer_store_dword v0, off, s[20:23], 0 offset:72 ; 4-byte Folded Spill
	s_nop 0
	buffer_store_dword v1, off, s[20:23], 0 offset:76 ; 4-byte Folded Spill
	buffer_load_dword v0, off, s[20:23], 0 offset:56 ; 4-byte Folded Reload
	s_nop 0
	buffer_load_dword v1, off, s[20:23], 0 offset:60 ; 4-byte Folded Reload
	s_waitcnt vmcnt(0)
	v_pk_mul_f32 v[0:1], v[0:1], v[10:11]
	buffer_store_dword v0, off, s[20:23], 0 offset:56 ; 4-byte Folded Spill
	s_nop 0
	buffer_store_dword v1, off, s[20:23], 0 offset:60 ; 4-byte Folded Spill
	ds_read_b128 v[8:11], v19 offset:1088
	s_waitcnt lgkmcnt(0)
	v_pk_mul_f32 v[50:51], v[50:51], v[8:9]
	v_pk_mul_f32 v[38:39], v[38:39], v[10:11]
	ds_read_b128 v[8:11], v19 offset:1104
	buffer_load_dword v0, off, s[20:23], 0 offset:32 ; 4-byte Folded Reload
	buffer_load_dword v1, off, s[20:23], 0 offset:36 ; 4-byte Folded Reload
	s_waitcnt vmcnt(0) lgkmcnt(0)
	v_pk_mul_f32 v[0:1], v[0:1], v[8:9]
	buffer_store_dword v0, off, s[20:23], 0 offset:32 ; 4-byte Folded Spill
	s_nop 0
	buffer_store_dword v1, off, s[20:23], 0 offset:36 ; 4-byte Folded Spill
	v_pk_mul_f32 v[0:1], v[30:31], v[10:11]
	buffer_store_dword v0, off, s[20:23], 0 offset:88 ; 4-byte Folded Spill
	s_nop 0
	buffer_store_dword v1, off, s[20:23], 0 offset:92 ; 4-byte Folded Spill
	ds_read_b128 v[8:11], v19 offset:1120
	buffer_load_dword v0, off, s[20:23], 0 offset:40 ; 4-byte Folded Reload
	buffer_load_dword v1, off, s[20:23], 0 offset:44 ; 4-byte Folded Reload
	s_waitcnt vmcnt(0) lgkmcnt(0)
	v_pk_mul_f32 v[0:1], v[0:1], v[8:9]
	buffer_store_dword v0, off, s[20:23], 0 offset:40 ; 4-byte Folded Spill
	s_nop 0
	buffer_store_dword v1, off, s[20:23], 0 offset:44 ; 4-byte Folded Spill
	v_pk_mul_f32 v[0:1], v[66:67], v[10:11]
	buffer_store_dword v0, off, s[20:23], 0 offset:96 ; 4-byte Folded Spill
	s_nop 0
	buffer_store_dword v1, off, s[20:23], 0 offset:100 ; 4-byte Folded Spill
	;; [unrolled: 12-line block ×3, first 2 shown]
	ds_read_b128 v[8:11], v19 offset:1152
	s_waitcnt lgkmcnt(0)
	v_pk_mul_f32 v[0:1], v[40:41], v[8:9]
	buffer_store_dword v0, off, s[20:23], 0 offset:112 ; 4-byte Folded Spill
	s_nop 0
	buffer_store_dword v1, off, s[20:23], 0 offset:116 ; 4-byte Folded Spill
	v_pk_mul_f32 v[36:37], v[42:43], v[10:11]
	ds_read_b128 v[8:11], v19 offset:1168
	buffer_load_dword v0, off, s[20:23], 0 offset:8 ; 4-byte Folded Reload
	buffer_load_dword v1, off, s[20:23], 0 offset:12 ; 4-byte Folded Reload
	s_waitcnt vmcnt(0) lgkmcnt(0)
	v_pk_mul_f32 v[0:1], v[0:1], v[8:9]
	buffer_store_dword v0, off, s[20:23], 0 offset:8 ; 4-byte Folded Spill
	s_nop 0
	buffer_store_dword v1, off, s[20:23], 0 offset:12 ; 4-byte Folded Spill
	v_pk_mul_f32 v[0:1], v[34:35], v[10:11]
	buffer_store_dword v0, off, s[20:23], 0 offset:120 ; 4-byte Folded Spill
	s_nop 0
	buffer_store_dword v1, off, s[20:23], 0 offset:124 ; 4-byte Folded Spill
	ds_read_b128 v[8:11], v19 offset:1184
	s_waitcnt lgkmcnt(0)
	v_pk_mul_f32 v[0:1], v[16:17], v[8:9]
	buffer_store_dword v0, off, s[20:23], 0 offset:128 ; 4-byte Folded Spill
	s_nop 0
	buffer_store_dword v1, off, s[20:23], 0 offset:132 ; 4-byte Folded Spill
	v_pk_mul_f32 v[0:1], v[48:49], v[10:11]
	buffer_store_dword v0, off, s[20:23], 0 offset:136 ; 4-byte Folded Spill
	s_nop 0
	buffer_store_dword v1, off, s[20:23], 0 offset:140 ; 4-byte Folded Spill
	ds_read_b128 v[8:11], v19 offset:1200
	buffer_load_dword v0, off, s[20:23], 0 offset:16 ; 4-byte Folded Reload
	buffer_load_dword v1, off, s[20:23], 0 offset:20 ; 4-byte Folded Reload
	v_pk_mov_b32 v[16:17], v[32:33], v[32:33] op_sel:[0,1]
	s_waitcnt vmcnt(0) lgkmcnt(0)
	v_pk_mul_f32 v[0:1], v[0:1], v[8:9]
	buffer_store_dword v0, off, s[20:23], 0 offset:16 ; 4-byte Folded Spill
	s_nop 0
	buffer_store_dword v1, off, s[20:23], 0 offset:20 ; 4-byte Folded Spill
	buffer_load_dword v0, off, s[20:23], 0 offset:24 ; 4-byte Folded Reload
	s_nop 0
	buffer_load_dword v1, off, s[20:23], 0 offset:28 ; 4-byte Folded Reload
	s_waitcnt vmcnt(0)
	v_pk_mul_f32 v[0:1], v[0:1], v[10:11]
	buffer_store_dword v0, off, s[20:23], 0 offset:24 ; 4-byte Folded Spill
	s_nop 0
	buffer_store_dword v1, off, s[20:23], 0 offset:28 ; 4-byte Folded Spill
	ds_read_b128 v[8:11], v19 offset:1216
	s_waitcnt lgkmcnt(0)
	v_pk_mul_f32 v[0:1], v[24:25], v[8:9]
	v_pk_mul_f32 v[8:9], v[14:15], v[10:11]
	buffer_store_dword v8, off, s[20:23], 0 offset:144 ; 4-byte Folded Spill
	s_nop 0
	buffer_store_dword v9, off, s[20:23], 0 offset:148 ; 4-byte Folded Spill
	ds_read_b128 v[12:15], v19 offset:1232
	buffer_load_dword v8, off, s[20:23], 0  ; 4-byte Folded Reload
	buffer_load_dword v9, off, s[20:23], 0 offset:4 ; 4-byte Folded Reload
	s_waitcnt lgkmcnt(0)
	v_pk_mul_f32 v[44:45], v[56:57], v[12:13]
	s_waitcnt vmcnt(0)
	v_pk_mul_f32 v[32:33], v[8:9], v[14:15]
	ds_read_b128 v[12:15], v19 offset:1248
	s_waitcnt lgkmcnt(0)
	v_pk_mul_f32 v[8:9], v[72:73], v[12:13]
	v_pk_mov_b32 v[12:13], v[54:55], v[54:55] op_sel:[0,1]
	ds_read_b128 v[54:57], v19 offset:1264
	v_pk_mul_f32 v[10:11], v[20:21], v[14:15]
	s_waitcnt lgkmcnt(0)
	v_pk_mul_f32 v[14:15], v[22:23], v[54:55]
	v_pk_mul_f32 v[2:3], v[2:3], v[56:57]
	buffer_store_dword v14, off, s[20:23], 0 offset:152 ; 4-byte Folded Spill
	s_nop 0
	buffer_store_dword v15, off, s[20:23], 0 offset:156 ; 4-byte Folded Spill
	buffer_store_dword v2, off, s[20:23], 0 ; 4-byte Folded Spill
	s_nop 0
	buffer_store_dword v3, off, s[20:23], 0 offset:4 ; 4-byte Folded Spill
	ds_read_b128 v[54:57], v19 offset:1280
	s_waitcnt lgkmcnt(0)
	v_pk_mul_f32 v[2:3], v[68:69], v[54:55]
	buffer_store_dword v2, off, s[20:23], 0 offset:168 ; 4-byte Folded Spill
	s_nop 0
	buffer_store_dword v3, off, s[20:23], 0 offset:172 ; 4-byte Folded Spill
	v_pk_mul_f32 v[2:3], v[120:121], v[56:57]
	buffer_store_dword v2, off, s[20:23], 0 offset:160 ; 4-byte Folded Spill
	s_nop 0
	buffer_store_dword v3, off, s[20:23], 0 offset:164 ; 4-byte Folded Spill
	ds_read_b128 v[22:25], v19 offset:1296
	s_waitcnt lgkmcnt(0)
	v_pk_mul_f32 v[2:3], v[46:47], v[24:25]
	buffer_store_dword v2, off, s[20:23], 0 offset:176 ; 4-byte Folded Spill
	s_nop 0
	buffer_store_dword v3, off, s[20:23], 0 offset:180 ; 4-byte Folded Spill
	v_pk_mul_f32 v[120:121], v[16:17], v[22:23]
	ds_read_b128 v[22:25], v19 offset:1312
	s_waitcnt lgkmcnt(0)
	v_pk_mul_f32 v[2:3], v[122:123], v[24:25]
	buffer_store_dword v2, off, s[20:23], 0 offset:184 ; 4-byte Folded Spill
	s_nop 0
	buffer_store_dword v3, off, s[20:23], 0 offset:188 ; 4-byte Folded Spill
	v_pk_mul_f32 v[94:95], v[26:27], v[22:23]
	;; [unrolled: 7-line block ×4, first 2 shown]
	ds_read_b128 v[22:25], v19 offset:1360
	buffer_load_dword v2, off, s[20:23], 0 offset:80 ; 4-byte Folded Reload
	buffer_load_dword v3, off, s[20:23], 0 offset:84 ; 4-byte Folded Reload
	s_waitcnt lgkmcnt(0)
	v_pk_mul_f32 v[88:89], v[88:89], v[24:25]
	s_waitcnt vmcnt(0)
	v_pk_mul_f32 v[2:3], v[2:3], v[22:23]
	buffer_store_dword v2, off, s[20:23], 0 offset:80 ; 4-byte Folded Spill
	s_nop 0
	buffer_store_dword v3, off, s[20:23], 0 offset:84 ; 4-byte Folded Spill
	ds_read_b128 v[22:25], v19 offset:1376
	s_waitcnt lgkmcnt(0)
	v_pk_mul_f32 v[2:3], v[70:71], v[22:23]
	buffer_store_dword v2, off, s[20:23], 0 offset:208 ; 4-byte Folded Spill
	s_nop 0
	buffer_store_dword v3, off, s[20:23], 0 offset:212 ; 4-byte Folded Spill
	v_pk_mul_f32 v[98:99], v[98:99], v[24:25]
	ds_read_b128 v[22:25], v19 offset:1392
	s_waitcnt lgkmcnt(0)
	v_pk_mul_f32 v[86:87], v[86:87], v[22:23]
	v_pk_mul_f32 v[100:101], v[100:101], v[24:25]
	ds_read_b128 v[22:25], v19 offset:1408
	s_waitcnt lgkmcnt(0)
	v_pk_mul_f32 v[90:91], v[90:91], v[22:23]
	;; [unrolled: 4-line block ×7, first 2 shown]
	buffer_store_dword v2, off, s[20:23], 0 offset:216 ; 4-byte Folded Spill
	s_nop 0
	buffer_store_dword v3, off, s[20:23], 0 offset:220 ; 4-byte Folded Spill
	v_pk_mul_f32 v[116:117], v[116:117], v[22:23]
	ds_read_b128 v[22:25], v19 offset:1504
	s_waitcnt lgkmcnt(0)
	v_pk_mul_f32 v[2:3], v[12:13], v[24:25]
	buffer_store_dword v2, off, s[20:23], 0 offset:224 ; 4-byte Folded Spill
	s_nop 0
	buffer_store_dword v3, off, s[20:23], 0 offset:228 ; 4-byte Folded Spill
	v_pk_mul_f32 v[78:79], v[78:79], v[22:23]
	ds_read_b128 v[22:25], v19 offset:1520
	s_waitcnt lgkmcnt(0)
	v_pk_mul_f32 v[122:123], v[74:75], v[22:23]
	v_add_co_u32_e32 v22, vcc, s2, v6
	v_addc_co_u32_e32 v23, vcc, v4, v7, vcc
	global_load_dword v4, v[22:23], off
	v_pk_mul_f32 v[62:63], v[64:65], v[24:25]
	ds_read_b128 v[22:25], v19
	s_waitcnt vmcnt(0) lgkmcnt(0)
	v_pk_fma_f32 v[108:109], v[4:5], v[22:23], v[108:109] op_sel_hi:[0,1,1]
	v_pk_fma_f32 v[102:103], v[4:5], v[24:25], v[102:103] op_sel_hi:[0,1,1]
	ds_read_b128 v[22:25], v19 offset:16
	s_waitcnt lgkmcnt(0)
	v_pk_fma_f32 v[92:93], v[4:5], v[22:23], v[92:93] op_sel_hi:[0,1,1]
	v_pk_fma_f32 v[28:29], v[4:5], v[24:25], v[28:29] op_sel_hi:[0,1,1]
	ds_read_b128 v[22:25], v19 offset:32
	buffer_load_dword v2, off, s[20:23], 0 offset:48 ; 4-byte Folded Reload
	buffer_load_dword v3, off, s[20:23], 0 offset:52 ; 4-byte Folded Reload
	s_waitcnt lgkmcnt(0)
	v_pk_fma_f32 v[76:77], v[4:5], v[24:25], v[76:77] op_sel_hi:[0,1,1]
	s_waitcnt vmcnt(0)
	v_pk_fma_f32 v[64:65], v[4:5], v[22:23], v[2:3] op_sel_hi:[0,1,1]
	ds_read_b128 v[22:25], v19 offset:48
	buffer_load_dword v2, off, s[20:23], 0 offset:72 ; 4-byte Folded Reload
	buffer_load_dword v3, off, s[20:23], 0 offset:76 ; 4-byte Folded Reload
	s_waitcnt vmcnt(0) lgkmcnt(0)
	v_pk_fma_f32 v[68:69], v[4:5], v[22:23], v[2:3] op_sel_hi:[0,1,1]
	buffer_load_dword v2, off, s[20:23], 0 offset:56 ; 4-byte Folded Reload
	buffer_load_dword v3, off, s[20:23], 0 offset:60 ; 4-byte Folded Reload
	s_waitcnt vmcnt(0)
	v_pk_fma_f32 v[66:67], v[4:5], v[24:25], v[2:3] op_sel_hi:[0,1,1]
	ds_read_b128 v[22:25], v19 offset:64
	s_waitcnt lgkmcnt(0)
	v_pk_fma_f32 v[50:51], v[4:5], v[22:23], v[50:51] op_sel_hi:[0,1,1]
	v_pk_fma_f32 v[12:13], v[4:5], v[24:25], v[38:39] op_sel_hi:[0,1,1]
	ds_read_b128 v[22:25], v19 offset:80
	buffer_load_dword v2, off, s[20:23], 0 offset:32 ; 4-byte Folded Reload
	buffer_load_dword v3, off, s[20:23], 0 offset:36 ; 4-byte Folded Reload
	s_waitcnt vmcnt(0) lgkmcnt(0)
	v_pk_fma_f32 v[30:31], v[4:5], v[22:23], v[2:3] op_sel_hi:[0,1,1]
	buffer_load_dword v2, off, s[20:23], 0 offset:88 ; 4-byte Folded Reload
	buffer_load_dword v3, off, s[20:23], 0 offset:92 ; 4-byte Folded Reload
	s_waitcnt vmcnt(0)
	v_pk_fma_f32 v[42:43], v[4:5], v[24:25], v[2:3] op_sel_hi:[0,1,1]
	ds_read_b128 v[22:25], v19 offset:96
	buffer_load_dword v2, off, s[20:23], 0 offset:40 ; 4-byte Folded Reload
	buffer_load_dword v3, off, s[20:23], 0 offset:44 ; 4-byte Folded Reload
	s_waitcnt vmcnt(0) lgkmcnt(0)
	v_pk_fma_f32 v[60:61], v[4:5], v[22:23], v[2:3] op_sel_hi:[0,1,1]
	buffer_load_dword v2, off, s[20:23], 0 offset:96 ; 4-byte Folded Reload
	buffer_load_dword v3, off, s[20:23], 0 offset:100 ; 4-byte Folded Reload
	s_waitcnt vmcnt(0)
	;; [unrolled: 9-line block ×3, first 2 shown]
	v_pk_fma_f32 v[40:41], v[4:5], v[24:25], v[2:3] op_sel_hi:[0,1,1]
	ds_read_b128 v[22:25], v19 offset:128
	buffer_load_dword v2, off, s[20:23], 0 offset:112 ; 4-byte Folded Reload
	buffer_load_dword v3, off, s[20:23], 0 offset:116 ; 4-byte Folded Reload
	s_waitcnt lgkmcnt(0)
	v_pk_fma_f32 v[48:49], v[4:5], v[24:25], v[36:37] op_sel_hi:[0,1,1]
	s_waitcnt vmcnt(0)
	v_pk_fma_f32 v[34:35], v[4:5], v[22:23], v[2:3] op_sel_hi:[0,1,1]
	ds_read_b128 v[22:25], v19 offset:144
	buffer_load_dword v2, off, s[20:23], 0 offset:8 ; 4-byte Folded Reload
	buffer_load_dword v3, off, s[20:23], 0 offset:12 ; 4-byte Folded Reload
	s_waitcnt vmcnt(0) lgkmcnt(0)
	v_pk_fma_f32 v[36:37], v[4:5], v[22:23], v[2:3] op_sel_hi:[0,1,1]
	buffer_load_dword v2, off, s[20:23], 0 offset:120 ; 4-byte Folded Reload
	buffer_load_dword v3, off, s[20:23], 0 offset:124 ; 4-byte Folded Reload
	s_waitcnt vmcnt(0)
	v_pk_fma_f32 v[58:59], v[4:5], v[24:25], v[2:3] op_sel_hi:[0,1,1]
	ds_read_b128 v[22:25], v19 offset:160
	buffer_load_dword v2, off, s[20:23], 0 offset:128 ; 4-byte Folded Reload
	buffer_load_dword v3, off, s[20:23], 0 offset:132 ; 4-byte Folded Reload
	s_waitcnt vmcnt(0) lgkmcnt(0)
	v_pk_fma_f32 v[26:27], v[4:5], v[22:23], v[2:3] op_sel_hi:[0,1,1]
	buffer_load_dword v2, off, s[20:23], 0 offset:136 ; 4-byte Folded Reload
	buffer_load_dword v3, off, s[20:23], 0 offset:140 ; 4-byte Folded Reload
	;; [unrolled: 9-line block ×3, first 2 shown]
	s_waitcnt vmcnt(0)
	v_pk_fma_f32 v[54:55], v[4:5], v[24:25], v[2:3] op_sel_hi:[0,1,1]
	ds_read_b128 v[22:25], v19 offset:192
	buffer_load_dword v2, off, s[20:23], 0 offset:144 ; 4-byte Folded Reload
	buffer_load_dword v3, off, s[20:23], 0 offset:148 ; 4-byte Folded Reload
	s_waitcnt lgkmcnt(0)
	v_pk_fma_f32 v[56:57], v[4:5], v[22:23], v[0:1] op_sel_hi:[0,1,1]
	v_pk_mov_b32 v[0:1], v[54:55], v[54:55] op_sel:[0,1]
	s_waitcnt vmcnt(0)
	v_pk_fma_f32 v[72:73], v[4:5], v[24:25], v[2:3] op_sel_hi:[0,1,1]
	ds_read_b128 v[22:25], v19 offset:208
	s_waitcnt lgkmcnt(0)
	v_pk_fma_f32 v[54:55], v[4:5], v[22:23], v[44:45] op_sel_hi:[0,1,1]
	v_pk_fma_f32 v[44:45], v[4:5], v[24:25], v[32:33] op_sel_hi:[0,1,1]
	ds_read_b128 v[22:25], v19 offset:224
	s_waitcnt lgkmcnt(0)
	v_pk_fma_f32 v[32:33], v[4:5], v[22:23], v[8:9] op_sel_hi:[0,1,1]
	v_pk_fma_f32 v[20:21], v[4:5], v[24:25], v[10:11] op_sel_hi:[0,1,1]
	ds_read_b128 v[8:11], v19 offset:240
	buffer_load_dword v2, off, s[20:23], 0 offset:152 ; 4-byte Folded Reload
	buffer_load_dword v3, off, s[20:23], 0 offset:156 ; 4-byte Folded Reload
	s_waitcnt vmcnt(0) lgkmcnt(0)
	v_pk_fma_f32 v[38:39], v[4:5], v[8:9], v[2:3] op_sel_hi:[0,1,1]
	buffer_load_dword v2, off, s[20:23], 0  ; 4-byte Folded Reload
	buffer_load_dword v3, off, s[20:23], 0 offset:4 ; 4-byte Folded Reload
	s_waitcnt vmcnt(0)
	v_pk_fma_f32 v[2:3], v[4:5], v[10:11], v[2:3] op_sel_hi:[0,1,1]
	ds_read_b128 v[8:11], v19 offset:256
	buffer_load_dword v22, off, s[20:23], 0 offset:168 ; 4-byte Folded Reload
	buffer_load_dword v23, off, s[20:23], 0 offset:172 ; 4-byte Folded Reload
	s_waitcnt vmcnt(0) lgkmcnt(0)
	v_pk_fma_f32 v[52:53], v[4:5], v[8:9], v[22:23] op_sel_hi:[0,1,1]
	buffer_load_dword v8, off, s[20:23], 0 offset:160 ; 4-byte Folded Reload
	buffer_load_dword v9, off, s[20:23], 0 offset:164 ; 4-byte Folded Reload
	s_waitcnt vmcnt(0)
	v_pk_fma_f32 v[8:9], v[4:5], v[10:11], v[8:9] op_sel_hi:[0,1,1]
	buffer_store_dword v8, off, s[20:23], 0 offset:104 ; 4-byte Folded Spill
	s_nop 0
	buffer_store_dword v9, off, s[20:23], 0 offset:108 ; 4-byte Folded Spill
	ds_read_b128 v[8:11], v19 offset:272
	s_waitcnt lgkmcnt(0)
	v_pk_fma_f32 v[8:9], v[4:5], v[8:9], v[120:121] op_sel_hi:[0,1,1]
	buffer_store_dword v8, off, s[20:23], 0 offset:96 ; 4-byte Folded Spill
	s_nop 0
	buffer_store_dword v9, off, s[20:23], 0 offset:100 ; 4-byte Folded Spill
	buffer_load_dword v8, off, s[20:23], 0 offset:176 ; 4-byte Folded Reload
	s_nop 0
	buffer_load_dword v9, off, s[20:23], 0 offset:180 ; 4-byte Folded Reload
	s_waitcnt vmcnt(0)
	v_pk_fma_f32 v[24:25], v[4:5], v[10:11], v[8:9] op_sel_hi:[0,1,1]
	ds_read_b128 v[8:11], v19 offset:288
	s_waitcnt lgkmcnt(0)
	v_pk_fma_f32 v[8:9], v[4:5], v[8:9], v[94:95] op_sel_hi:[0,1,1]
	buffer_store_dword v8, off, s[20:23], 0 offset:120 ; 4-byte Folded Spill
	s_nop 0
	buffer_store_dword v9, off, s[20:23], 0 offset:124 ; 4-byte Folded Spill
	buffer_load_dword v8, off, s[20:23], 0 offset:184 ; 4-byte Folded Reload
	s_nop 0
	buffer_load_dword v9, off, s[20:23], 0 offset:188 ; 4-byte Folded Reload
	s_waitcnt vmcnt(0)
	v_pk_fma_f32 v[8:9], v[4:5], v[10:11], v[8:9] op_sel_hi:[0,1,1]
	buffer_store_dword v8, off, s[20:23], 0 offset:112 ; 4-byte Folded Spill
	s_nop 0
	buffer_store_dword v9, off, s[20:23], 0 offset:116 ; 4-byte Folded Spill
	ds_read_b128 v[8:11], v19 offset:304
	s_waitcnt lgkmcnt(0)
	v_pk_fma_f32 v[80:81], v[4:5], v[8:9], v[82:83] op_sel_hi:[0,1,1]
	buffer_load_dword v8, off, s[20:23], 0 offset:192 ; 4-byte Folded Reload
	buffer_load_dword v9, off, s[20:23], 0 offset:196 ; 4-byte Folded Reload
	s_waitcnt vmcnt(0)
	v_pk_fma_f32 v[22:23], v[4:5], v[10:11], v[8:9] op_sel_hi:[0,1,1]
	ds_read_b128 v[8:11], v19 offset:320
	buffer_load_dword v74, off, s[20:23], 0 offset:200 ; 4-byte Folded Reload
	buffer_load_dword v75, off, s[20:23], 0 offset:204 ; 4-byte Folded Reload
	s_waitcnt lgkmcnt(0)
	v_pk_fma_f32 v[84:85], v[4:5], v[10:11], v[84:85] op_sel_hi:[0,1,1]
	s_waitcnt vmcnt(0)
	v_pk_fma_f32 v[8:9], v[4:5], v[8:9], v[74:75] op_sel_hi:[0,1,1]
	buffer_store_dword v8, off, s[20:23], 0 offset:88 ; 4-byte Folded Spill
	s_nop 0
	buffer_store_dword v9, off, s[20:23], 0 offset:92 ; 4-byte Folded Spill
	ds_read_b128 v[8:11], v19 offset:336
	buffer_load_dword v74, off, s[20:23], 0 offset:80 ; 4-byte Folded Reload
	buffer_load_dword v75, off, s[20:23], 0 offset:84 ; 4-byte Folded Reload
	s_waitcnt lgkmcnt(0)
	v_pk_fma_f32 v[88:89], v[4:5], v[10:11], v[88:89] op_sel_hi:[0,1,1]
	s_waitcnt vmcnt(0)
	v_pk_fma_f32 v[120:121], v[4:5], v[8:9], v[74:75] op_sel_hi:[0,1,1]
	ds_read_b128 v[8:11], v19 offset:352
	buffer_load_dword v74, off, s[20:23], 0 offset:208 ; 4-byte Folded Reload
	buffer_load_dword v75, off, s[20:23], 0 offset:212 ; 4-byte Folded Reload
	s_waitcnt lgkmcnt(0)
	v_pk_fma_f32 v[98:99], v[4:5], v[10:11], v[98:99] op_sel_hi:[0,1,1]
	s_waitcnt vmcnt(0)
	v_pk_fma_f32 v[82:83], v[4:5], v[8:9], v[74:75] op_sel_hi:[0,1,1]
	ds_read_b128 v[8:11], v19 offset:368
	s_waitcnt lgkmcnt(0)
	v_pk_fma_f32 v[86:87], v[4:5], v[8:9], v[86:87] op_sel_hi:[0,1,1]
	v_pk_fma_f32 v[100:101], v[4:5], v[10:11], v[100:101] op_sel_hi:[0,1,1]
	ds_read_b128 v[8:11], v19 offset:384
	s_waitcnt lgkmcnt(0)
	v_pk_fma_f32 v[90:91], v[4:5], v[8:9], v[90:91] op_sel_hi:[0,1,1]
	;; [unrolled: 4-line block ×7, first 2 shown]
	buffer_load_dword v8, off, s[20:23], 0 offset:216 ; 4-byte Folded Reload
	buffer_load_dword v9, off, s[20:23], 0 offset:220 ; 4-byte Folded Reload
	s_waitcnt vmcnt(0)
	v_pk_fma_f32 v[94:95], v[4:5], v[10:11], v[8:9] op_sel_hi:[0,1,1]
	ds_read_b128 v[8:11], v19 offset:480
	s_waitcnt lgkmcnt(0)
	v_pk_fma_f32 v[78:79], v[4:5], v[8:9], v[78:79] op_sel_hi:[0,1,1]
	buffer_load_dword v8, off, s[20:23], 0 offset:224 ; 4-byte Folded Reload
	buffer_load_dword v9, off, s[20:23], 0 offset:228 ; 4-byte Folded Reload
	s_waitcnt vmcnt(0)
	v_pk_fma_f32 v[74:75], v[4:5], v[10:11], v[8:9] op_sel_hi:[0,1,1]
	ds_read_b128 v[8:11], v19 offset:496
	s_waitcnt lgkmcnt(0)
	v_pk_fma_f32 v[122:123], v[4:5], v[8:9], v[122:123] op_sel_hi:[0,1,1]
	v_pk_fma_f32 v[62:63], v[4:5], v[10:11], v[62:63] op_sel_hi:[0,1,1]
	ds_read_b128 v[8:11], v19 offset:512
	s_waitcnt lgkmcnt(0)
	v_fma_f32 v4, v108, v8, 0
	v_fmac_f32_e32 v4, v109, v9
	v_fmac_f32_e32 v4, v102, v10
	;; [unrolled: 1-line block ×3, first 2 shown]
	ds_read_b128 v[8:11], v19 offset:528
	s_waitcnt lgkmcnt(0)
	v_fmac_f32_e32 v4, v92, v8
	v_fmac_f32_e32 v4, v93, v9
	;; [unrolled: 1-line block ×4, first 2 shown]
	ds_read_b128 v[8:11], v19 offset:544
	s_waitcnt lgkmcnt(0)
	v_fmac_f32_e32 v4, v64, v8
	buffer_store_dword v64, off, s[20:23], 0 offset:48 ; 4-byte Folded Spill
	s_nop 0
	buffer_store_dword v65, off, s[20:23], 0 offset:52 ; 4-byte Folded Spill
	v_fmac_f32_e32 v4, v65, v9
	v_fmac_f32_e32 v4, v76, v10
	;; [unrolled: 1-line block ×3, first 2 shown]
	ds_read_b128 v[8:11], v19 offset:560
	v_pk_mov_b32 v[64:65], v[120:121], v[120:121] op_sel:[0,1]
	s_waitcnt lgkmcnt(0)
	v_fmac_f32_e32 v4, v68, v8
	buffer_store_dword v68, off, s[20:23], 0 offset:72 ; 4-byte Folded Spill
	s_nop 0
	buffer_store_dword v69, off, s[20:23], 0 offset:76 ; 4-byte Folded Spill
	v_fmac_f32_e32 v4, v69, v9
	v_fmac_f32_e32 v4, v66, v10
	buffer_store_dword v66, off, s[20:23], 0 offset:56 ; 4-byte Folded Spill
	s_nop 0
	buffer_store_dword v67, off, s[20:23], 0 offset:60 ; 4-byte Folded Spill
	v_pk_mov_b32 v[68:69], v[52:53], v[52:53] op_sel:[0,1]
	v_fmac_f32_e32 v4, v67, v11
	ds_read_b128 v[8:11], v19 offset:576
	v_pk_mov_b32 v[66:67], v[70:71], v[70:71] op_sel:[0,1]
	s_waitcnt lgkmcnt(0)
	v_fmac_f32_e32 v4, v50, v8
	v_fmac_f32_e32 v4, v51, v9
	;; [unrolled: 1-line block ×4, first 2 shown]
	ds_read_b128 v[8:11], v19 offset:592
	s_waitcnt lgkmcnt(0)
	v_fmac_f32_e32 v4, v30, v8
	buffer_store_dword v30, off, s[20:23], 0 offset:32 ; 4-byte Folded Spill
	s_nop 0
	buffer_store_dword v31, off, s[20:23], 0 offset:36 ; 4-byte Folded Spill
	v_fmac_f32_e32 v4, v31, v9
	v_fmac_f32_e32 v4, v42, v10
	v_fmac_f32_e32 v4, v43, v11
	ds_read_b128 v[8:11], v19 offset:608
	v_pk_mov_b32 v[30:31], v[42:43], v[42:43] op_sel:[0,1]
	v_pk_mov_b32 v[42:43], v[48:49], v[48:49] op_sel:[0,1]
	s_waitcnt lgkmcnt(0)
	v_fmac_f32_e32 v4, v60, v8
	buffer_store_dword v60, off, s[20:23], 0 offset:40 ; 4-byte Folded Spill
	s_nop 0
	buffer_store_dword v61, off, s[20:23], 0 offset:44 ; 4-byte Folded Spill
	v_fmac_f32_e32 v4, v61, v9
	v_fmac_f32_e32 v4, v70, v10
	v_fmac_f32_e32 v4, v71, v11
	ds_read_b128 v[8:11], v19 offset:624
	v_pk_mov_b32 v[60:61], v[40:41], v[40:41] op_sel:[0,1]
	v_pk_mov_b32 v[70:71], v[82:83], v[82:83] op_sel:[0,1]
	;; [unrolled: 11-line block ×3, first 2 shown]
	s_waitcnt lgkmcnt(0)
	v_fmac_f32_e32 v4, v34, v8
	v_fmac_f32_e32 v4, v35, v9
	;; [unrolled: 1-line block ×4, first 2 shown]
	ds_read_b128 v[8:11], v19 offset:656
	v_pk_mov_b32 v[48:49], v[46:47], v[46:47] op_sel:[0,1]
	v_pk_mov_b32 v[34:35], v[58:59], v[58:59] op_sel:[0,1]
	s_waitcnt lgkmcnt(0)
	v_fmac_f32_e32 v4, v36, v8
	buffer_store_dword v36, off, s[20:23], 0 offset:8 ; 4-byte Folded Spill
	s_nop 0
	buffer_store_dword v37, off, s[20:23], 0 offset:12 ; 4-byte Folded Spill
	v_fmac_f32_e32 v4, v37, v9
	v_fmac_f32_e32 v4, v58, v10
	;; [unrolled: 1-line block ×3, first 2 shown]
	ds_read_b128 v[8:11], v19 offset:672
	v_pk_mov_b32 v[36:37], v[80:81], v[80:81] op_sel:[0,1]
	v_pk_mov_b32 v[58:59], v[22:23], v[22:23] op_sel:[0,1]
	;; [unrolled: 1-line block ×3, first 2 shown]
	s_waitcnt lgkmcnt(0)
	v_fmac_f32_e32 v4, v26, v8
	v_fmac_f32_e32 v4, v27, v9
	;; [unrolled: 1-line block ×4, first 2 shown]
	ds_read_b128 v[8:11], v19 offset:688
	v_pk_mov_b32 v[46:47], v[24:25], v[24:25] op_sel:[0,1]
	v_pk_mov_b32 v[24:25], v[56:57], v[56:57] op_sel:[0,1]
	;; [unrolled: 1-line block ×3, first 2 shown]
	s_waitcnt lgkmcnt(0)
	v_fmac_f32_e32 v4, v14, v8
	buffer_store_dword v14, off, s[20:23], 0 offset:16 ; 4-byte Folded Spill
	s_nop 0
	buffer_store_dword v15, off, s[20:23], 0 offset:20 ; 4-byte Folded Spill
	v_fmac_f32_e32 v4, v15, v9
	v_fmac_f32_e32 v4, v0, v10
	buffer_store_dword v0, off, s[20:23], 0 offset:24 ; 4-byte Folded Spill
	s_nop 0
	buffer_store_dword v1, off, s[20:23], 0 offset:28 ; 4-byte Folded Spill
	v_pk_mov_b32 v[14:15], v[72:73], v[72:73] op_sel:[0,1]
	v_fmac_f32_e32 v4, v1, v11
	ds_read_b128 v[8:11], v19 offset:704
	s_waitcnt lgkmcnt(0)
	v_fmac_f32_e32 v4, v56, v8
	v_fmac_f32_e32 v4, v57, v9
	;; [unrolled: 1-line block ×4, first 2 shown]
	ds_read_b128 v[8:11], v19 offset:720
	v_pk_mov_b32 v[56:57], v[54:55], v[54:55] op_sel:[0,1]
	v_pk_mov_b32 v[72:73], v[32:33], v[32:33] op_sel:[0,1]
	s_waitcnt lgkmcnt(0)
	v_fmac_f32_e32 v4, v54, v8
	v_fmac_f32_e32 v4, v55, v9
	;; [unrolled: 1-line block ×3, first 2 shown]
	buffer_store_dword v44, off, s[20:23], 0 ; 4-byte Folded Spill
	s_nop 0
	buffer_store_dword v45, off, s[20:23], 0 offset:4 ; 4-byte Folded Spill
	v_pk_mov_b32 v[54:55], v[74:75], v[74:75] op_sel:[0,1]
	v_pk_mov_b32 v[74:75], v[122:123], v[122:123] op_sel:[0,1]
	v_fmac_f32_e32 v4, v45, v11
	buffer_load_dword v44, off, s[20:23], 0 offset:120 ; 4-byte Folded Reload
	buffer_load_dword v45, off, s[20:23], 0 offset:124 ; 4-byte Folded Reload
	;; [unrolled: 1-line block ×6, first 2 shown]
	ds_read_b128 v[8:11], v19 offset:736
	s_waitcnt lgkmcnt(0)
	v_fmac_f32_e32 v4, v32, v8
	v_fmac_f32_e32 v4, v33, v9
	buffer_load_dword v32, off, s[20:23], 0 offset:96 ; 4-byte Folded Reload
	buffer_load_dword v33, off, s[20:23], 0 offset:100 ; 4-byte Folded Reload
	v_fmac_f32_e32 v4, v20, v10
	v_fmac_f32_e32 v4, v21, v11
	ds_read_b128 v[8:11], v19 offset:752
	v_pk_mov_b32 v[20:21], v[94:95], v[94:95] op_sel:[0,1]
	s_waitcnt lgkmcnt(0)
	v_fmac_f32_e32 v4, v38, v8
	v_fmac_f32_e32 v4, v39, v9
	;; [unrolled: 1-line block ×4, first 2 shown]
	ds_read_b128 v[8:11], v19 offset:768
	v_pk_mov_b32 v[38:39], v[12:13], v[12:13] op_sel:[0,1]
	s_waitcnt lgkmcnt(0)
	v_fmac_f32_e32 v4, v52, v8
	v_fmac_f32_e32 v4, v53, v9
	buffer_load_dword v52, off, s[20:23], 0 offset:88 ; 4-byte Folded Reload
	buffer_load_dword v53, off, s[20:23], 0 offset:92 ; 4-byte Folded Reload
	s_waitcnt vmcnt(7)
	v_fmac_f32_e32 v4, v120, v10
	s_waitcnt vmcnt(6)
	v_fmac_f32_e32 v4, v121, v11
	ds_read_b128 v[8:11], v19 offset:784
	s_waitcnt vmcnt(3) lgkmcnt(0)
	v_fmac_f32_e32 v4, v32, v8
	s_waitcnt vmcnt(2)
	v_fmac_f32_e32 v4, v33, v9
	v_fmac_f32_e32 v4, v46, v10
	;; [unrolled: 1-line block ×3, first 2 shown]
	ds_read_b128 v[8:11], v19 offset:800
	s_waitcnt lgkmcnt(0)
	v_fmac_f32_e32 v4, v44, v8
	v_fmac_f32_e32 v4, v45, v9
	;; [unrolled: 1-line block ×4, first 2 shown]
	ds_read_b128 v[8:11], v19 offset:816
	s_waitcnt lgkmcnt(0)
	v_fmac_f32_e32 v4, v36, v8
	v_fmac_f32_e32 v4, v37, v9
	;; [unrolled: 1-line block ×4, first 2 shown]
	ds_read_b128 v[8:11], v19 offset:832
	s_waitcnt vmcnt(1) lgkmcnt(0)
	v_fmac_f32_e32 v4, v52, v8
	s_waitcnt vmcnt(0)
	v_fmac_f32_e32 v4, v53, v9
	v_fmac_f32_e32 v4, v84, v10
	;; [unrolled: 1-line block ×3, first 2 shown]
	ds_read_b128 v[8:11], v19 offset:848
	s_waitcnt lgkmcnt(0)
	v_fmac_f32_e32 v4, v64, v8
	buffer_store_dword v64, off, s[20:23], 0 offset:80 ; 4-byte Folded Spill
	s_nop 0
	buffer_store_dword v65, off, s[20:23], 0 offset:84 ; 4-byte Folded Spill
	v_fmac_f32_e32 v4, v65, v9
	v_fmac_f32_e32 v4, v88, v10
	v_fmac_f32_e32 v4, v89, v11
	ds_read_b128 v[8:11], v19 offset:864
	s_waitcnt lgkmcnt(0)
	v_fmac_f32_e32 v4, v70, v8
	v_fmac_f32_e32 v4, v71, v9
	v_fmac_f32_e32 v4, v98, v10
	v_fmac_f32_e32 v4, v99, v11
	ds_read_b128 v[8:11], v19 offset:880
	s_waitcnt lgkmcnt(0)
	v_fmac_f32_e32 v4, v86, v8
	;; [unrolled: 6-line block ×10, first 2 shown]
	v_fmac_f32_e32 v4, v75, v9
	v_fmac_f32_e32 v4, v62, v10
	;; [unrolled: 1-line block ×3, first 2 shown]
	v_mov_b32_e32 v9, s11
	v_add_co_u32_e32 v8, vcc, s10, v6
	v_addc_co_u32_e32 v9, vcc, v9, v7, vcc
	v_mul_f32_e32 v4, s12, v4
	global_store_dword v[8:9], v4, off
	v_add_co_u32_e32 v6, vcc, s18, v6
	v_mov_b32_e32 v4, s19
	v_addc_co_u32_e32 v7, vcc, v7, v4, vcc
	v_cmp_ge_i32_e32 vcc, v18, v5
	s_or_b64 s[16:17], vcc, s[16:17]
	s_andn2_b64 exec, exec, s[16:17]
	s_cbranch_execnz .LBB1_2
; %bb.3:
	s_or_b64 exec, exec, s[16:17]
	buffer_load_dword v6, off, s[20:23], 0 offset:244 ; 4-byte Folded Reload
	buffer_load_dword v7, off, s[20:23], 0 offset:248 ; 4-byte Folded Reload
	v_pk_mov_b32 v[12:13], v[2:3], v[2:3] op_sel:[0,1]
	v_pk_mov_b32 v[10:11], v[50:51], v[50:51] op_sel:[0,1]
.LBB1_4:
	s_or_b64 exec, exec, s[8:9]
	s_mul_i32 s0, s14, s13
	s_waitcnt vmcnt(1)
	v_add_u32_e32 v4, s0, v6
	v_ashrrev_i32_e32 v5, 31, v4
	s_waitcnt vmcnt(0)
	v_lshlrev_b64 v[6:7], 2, v[4:5]
	v_mov_b32_e32 v8, s11
	v_add_co_u32_e32 v6, vcc, s10, v6
	v_addc_co_u32_e32 v7, vcc, v8, v7, vcc
	buffer_store_dword v62, off, s[20:23], 0 offset:88 ; 4-byte Folded Spill
	s_nop 0
	buffer_store_dword v63, off, s[20:23], 0 offset:92 ; 4-byte Folded Spill
	global_store_dword v[6:7], v108, off
	global_store_dword v[6:7], v109, off offset:512
	global_store_dword v[6:7], v102, off offset:1024
	;; [unrolled: 1-line block ×7, first 2 shown]
	buffer_load_dword v2, off, s[20:23], 0 offset:48 ; 4-byte Folded Reload
	buffer_load_dword v3, off, s[20:23], 0 offset:52 ; 4-byte Folded Reload
	v_add_u32_e32 v6, 0x400, v4
	v_ashrrev_i32_e32 v7, 31, v6
	v_lshlrev_b64 v[6:7], 2, v[6:7]
	v_add_u32_e32 v8, 0x480, v4
	v_mov_b32_e32 v5, s11
	v_add_co_u32_e32 v6, vcc, s10, v6
	v_ashrrev_i32_e32 v9, 31, v8
	v_addc_co_u32_e32 v7, vcc, v5, v7, vcc
	v_lshlrev_b64 v[8:9], 2, v[8:9]
	v_add_co_u32_e32 v8, vcc, s10, v8
	v_addc_co_u32_e32 v9, vcc, v5, v9, vcc
	v_pk_mov_b32 v[18:19], v[78:79], v[78:79] op_sel:[0,1]
	v_pk_mov_b32 v[80:81], v[74:75], v[74:75] op_sel:[0,1]
	;; [unrolled: 1-line block ×3, first 2 shown]
	s_waitcnt vmcnt(1)
	global_store_dword v[6:7], v2, off
	s_waitcnt vmcnt(1)
	global_store_dword v[8:9], v3, off
	v_add_u32_e32 v6, 0x500, v4
	v_ashrrev_i32_e32 v7, 31, v6
	v_lshlrev_b64 v[6:7], 2, v[6:7]
	v_add_u32_e32 v8, 0x580, v4
	v_add_co_u32_e32 v6, vcc, s10, v6
	v_ashrrev_i32_e32 v9, 31, v8
	v_addc_co_u32_e32 v7, vcc, v5, v7, vcc
	v_lshlrev_b64 v[8:9], 2, v[8:9]
	v_add_co_u32_e32 v8, vcc, s10, v8
	v_addc_co_u32_e32 v9, vcc, v5, v9, vcc
	global_store_dword v[6:7], v76, off
	global_store_dword v[8:9], v77, off
	buffer_load_dword v50, off, s[20:23], 0 offset:72 ; 4-byte Folded Reload
	buffer_load_dword v51, off, s[20:23], 0 offset:76 ; 4-byte Folded Reload
	v_add_u32_e32 v6, 0x600, v4
	v_ashrrev_i32_e32 v7, 31, v6
	v_lshlrev_b64 v[6:7], 2, v[6:7]
	v_add_co_u32_e32 v6, vcc, s10, v6
	v_addc_co_u32_e32 v7, vcc, v5, v7, vcc
	s_waitcnt vmcnt(1)
	global_store_dword v[6:7], v50, off
	v_add_u32_e32 v6, 0x680, v4
	v_ashrrev_i32_e32 v7, 31, v6
	v_lshlrev_b64 v[6:7], 2, v[6:7]
	v_add_co_u32_e32 v6, vcc, s10, v6
	v_addc_co_u32_e32 v7, vcc, v5, v7, vcc
	s_waitcnt vmcnt(1)
	global_store_dword v[6:7], v51, off
	buffer_load_dword v78, off, s[20:23], 0 offset:56 ; 4-byte Folded Reload
	buffer_load_dword v79, off, s[20:23], 0 offset:60 ; 4-byte Folded Reload
	v_add_u32_e32 v6, 0x700, v4
	v_ashrrev_i32_e32 v7, 31, v6
	v_lshlrev_b64 v[6:7], 2, v[6:7]
	v_add_co_u32_e32 v6, vcc, s10, v6
	v_addc_co_u32_e32 v7, vcc, v5, v7, vcc
	s_waitcnt vmcnt(1)
	global_store_dword v[6:7], v78, off
	v_add_u32_e32 v6, 0x780, v4
	v_ashrrev_i32_e32 v7, 31, v6
	v_lshlrev_b64 v[6:7], 2, v[6:7]
	v_add_co_u32_e32 v6, vcc, s10, v6
	v_addc_co_u32_e32 v7, vcc, v5, v7, vcc
	s_waitcnt vmcnt(1)
	global_store_dword v[6:7], v79, off
	v_add_u32_e32 v6, 0x800, v4
	v_ashrrev_i32_e32 v7, 31, v6
	v_lshlrev_b64 v[6:7], 2, v[6:7]
	v_add_co_u32_e32 v6, vcc, s10, v6
	v_addc_co_u32_e32 v7, vcc, v5, v7, vcc
	global_store_dword v[6:7], v10, off
	v_add_u32_e32 v6, 0x880, v4
	v_ashrrev_i32_e32 v7, 31, v6
	v_lshlrev_b64 v[6:7], 2, v[6:7]
	v_add_co_u32_e32 v6, vcc, s10, v6
	v_addc_co_u32_e32 v7, vcc, v5, v7, vcc
	;; [unrolled: 6-line block ×4, first 2 shown]
	global_store_dword v[6:7], v39, off
	buffer_load_dword v2, off, s[20:23], 0 offset:32 ; 4-byte Folded Reload
	buffer_load_dword v3, off, s[20:23], 0 offset:36 ; 4-byte Folded Reload
	v_add_u32_e32 v6, 0xa00, v4
	v_ashrrev_i32_e32 v7, 31, v6
	v_lshlrev_b64 v[6:7], 2, v[6:7]
	v_add_co_u32_e32 v6, vcc, s10, v6
	v_addc_co_u32_e32 v7, vcc, v5, v7, vcc
	s_waitcnt vmcnt(1)
	global_store_dword v[6:7], v2, off
	v_add_u32_e32 v6, 0xa80, v4
	v_ashrrev_i32_e32 v7, 31, v6
	v_lshlrev_b64 v[6:7], 2, v[6:7]
	v_add_co_u32_e32 v6, vcc, s10, v6
	v_addc_co_u32_e32 v7, vcc, v5, v7, vcc
	s_waitcnt vmcnt(1)
	global_store_dword v[6:7], v3, off
	v_add_u32_e32 v6, 0xb00, v4
	v_ashrrev_i32_e32 v7, 31, v6
	v_lshlrev_b64 v[6:7], 2, v[6:7]
	v_add_co_u32_e32 v6, vcc, s10, v6
	v_addc_co_u32_e32 v7, vcc, v5, v7, vcc
	global_store_dword v[6:7], v30, off
	v_add_u32_e32 v6, 0xb80, v4
	v_ashrrev_i32_e32 v7, 31, v6
	v_lshlrev_b64 v[6:7], 2, v[6:7]
	v_add_co_u32_e32 v6, vcc, s10, v6
	v_addc_co_u32_e32 v7, vcc, v5, v7, vcc
	global_store_dword v[6:7], v31, off
	buffer_load_dword v2, off, s[20:23], 0 offset:40 ; 4-byte Folded Reload
	buffer_load_dword v3, off, s[20:23], 0 offset:44 ; 4-byte Folded Reload
	v_add_u32_e32 v6, 0xc00, v4
	v_ashrrev_i32_e32 v7, 31, v6
	v_lshlrev_b64 v[6:7], 2, v[6:7]
	v_add_co_u32_e32 v6, vcc, s10, v6
	v_addc_co_u32_e32 v7, vcc, v5, v7, vcc
	s_waitcnt vmcnt(1)
	global_store_dword v[6:7], v2, off
	v_add_u32_e32 v6, 0xc80, v4
	v_ashrrev_i32_e32 v7, 31, v6
	v_lshlrev_b64 v[6:7], 2, v[6:7]
	v_add_co_u32_e32 v6, vcc, s10, v6
	v_addc_co_u32_e32 v7, vcc, v5, v7, vcc
	s_waitcnt vmcnt(1)
	global_store_dword v[6:7], v3, off
	v_add_u32_e32 v6, 0xd00, v4
	v_ashrrev_i32_e32 v7, 31, v6
	v_lshlrev_b64 v[6:7], 2, v[6:7]
	v_add_co_u32_e32 v6, vcc, s10, v6
	v_addc_co_u32_e32 v7, vcc, v5, v7, vcc
	global_store_dword v[6:7], v66, off
	v_add_u32_e32 v6, 0xd80, v4
	v_ashrrev_i32_e32 v7, 31, v6
	v_lshlrev_b64 v[6:7], 2, v[6:7]
	v_add_co_u32_e32 v6, vcc, s10, v6
	v_addc_co_u32_e32 v7, vcc, v5, v7, vcc
	global_store_dword v[6:7], v67, off
	buffer_load_dword v64, off, s[20:23], 0 offset:64 ; 4-byte Folded Reload
	buffer_load_dword v65, off, s[20:23], 0 offset:68 ; 4-byte Folded Reload
	v_add_u32_e32 v6, 0xe00, v4
	v_ashrrev_i32_e32 v7, 31, v6
	v_lshlrev_b64 v[6:7], 2, v[6:7]
	v_add_co_u32_e32 v6, vcc, s10, v6
	v_addc_co_u32_e32 v7, vcc, v5, v7, vcc
	v_mov_b32_e32 v2, s11
	s_waitcnt vmcnt(1)
	global_store_dword v[6:7], v64, off
	v_add_u32_e32 v6, 0xe80, v4
	v_ashrrev_i32_e32 v7, 31, v6
	v_lshlrev_b64 v[6:7], 2, v[6:7]
	v_add_co_u32_e32 v6, vcc, s10, v6
	v_addc_co_u32_e32 v7, vcc, v5, v7, vcc
	s_waitcnt vmcnt(1)
	global_store_dword v[6:7], v65, off
	v_add_u32_e32 v6, 0xf00, v4
	v_ashrrev_i32_e32 v7, 31, v6
	v_lshlrev_b64 v[6:7], 2, v[6:7]
	v_add_co_u32_e32 v6, vcc, s10, v6
	v_addc_co_u32_e32 v7, vcc, v5, v7, vcc
	global_store_dword v[6:7], v60, off
	v_add_u32_e32 v6, 0xf80, v4
	v_ashrrev_i32_e32 v7, 31, v6
	v_lshlrev_b64 v[6:7], 2, v[6:7]
	v_add_co_u32_e32 v6, vcc, s10, v6
	v_addc_co_u32_e32 v7, vcc, v5, v7, vcc
	;; [unrolled: 6-line block ×6, first 2 shown]
	global_store_dword v[6:7], v43, off
	buffer_load_dword v62, off, s[20:23], 0 offset:8 ; 4-byte Folded Reload
	buffer_load_dword v63, off, s[20:23], 0 offset:12 ; 4-byte Folded Reload
	v_add_u32_e32 v6, 0x1200, v4
	v_ashrrev_i32_e32 v7, 31, v6
	v_lshlrev_b64 v[6:7], 2, v[6:7]
	v_add_co_u32_e32 v6, vcc, s10, v6
	v_addc_co_u32_e32 v7, vcc, v5, v7, vcc
	s_waitcnt vmcnt(1)
	global_store_dword v[6:7], v62, off
	v_add_u32_e32 v6, 0x1280, v4
	v_ashrrev_i32_e32 v7, 31, v6
	v_lshlrev_b64 v[6:7], 2, v[6:7]
	v_add_co_u32_e32 v6, vcc, s10, v6
	v_addc_co_u32_e32 v7, vcc, v5, v7, vcc
	s_waitcnt vmcnt(1)
	global_store_dword v[6:7], v63, off
	v_add_u32_e32 v6, 0x1300, v4
	v_ashrrev_i32_e32 v7, 31, v6
	v_lshlrev_b64 v[6:7], 2, v[6:7]
	v_add_co_u32_e32 v6, vcc, s10, v6
	v_addc_co_u32_e32 v7, vcc, v5, v7, vcc
	global_store_dword v[6:7], v34, off
	v_add_u32_e32 v6, 0x1380, v4
	v_ashrrev_i32_e32 v7, 31, v6
	v_lshlrev_b64 v[6:7], 2, v[6:7]
	v_add_co_u32_e32 v6, vcc, s10, v6
	v_addc_co_u32_e32 v7, vcc, v5, v7, vcc
	;; [unrolled: 6-line block ×6, first 2 shown]
	global_store_dword v[6:7], v49, off
	buffer_load_dword v92, off, s[20:23], 0 offset:16 ; 4-byte Folded Reload
	buffer_load_dword v93, off, s[20:23], 0 offset:20 ; 4-byte Folded Reload
	v_add_u32_e32 v6, 0x1600, v4
	v_ashrrev_i32_e32 v7, 31, v6
	v_lshlrev_b64 v[6:7], 2, v[6:7]
	v_add_co_u32_e32 v6, vcc, s10, v6
	v_addc_co_u32_e32 v7, vcc, v5, v7, vcc
	s_waitcnt vmcnt(1)
	global_store_dword v[6:7], v92, off
	v_add_u32_e32 v6, 0x1680, v4
	v_ashrrev_i32_e32 v7, 31, v6
	v_lshlrev_b64 v[6:7], 2, v[6:7]
	v_add_co_u32_e32 v6, vcc, s10, v6
	v_addc_co_u32_e32 v7, vcc, v5, v7, vcc
	s_waitcnt vmcnt(1)
	global_store_dword v[6:7], v93, off
	buffer_load_dword v74, off, s[20:23], 0 offset:24 ; 4-byte Folded Reload
	buffer_load_dword v75, off, s[20:23], 0 offset:28 ; 4-byte Folded Reload
	v_add_u32_e32 v6, 0x1700, v4
	v_ashrrev_i32_e32 v7, 31, v6
	v_lshlrev_b64 v[6:7], 2, v[6:7]
	v_add_co_u32_e32 v6, vcc, s10, v6
	v_addc_co_u32_e32 v7, vcc, v5, v7, vcc
	s_waitcnt vmcnt(1)
	global_store_dword v[6:7], v74, off
	v_add_u32_e32 v6, 0x1780, v4
	v_ashrrev_i32_e32 v7, 31, v6
	v_lshlrev_b64 v[6:7], 2, v[6:7]
	v_add_co_u32_e32 v6, vcc, s10, v6
	v_addc_co_u32_e32 v7, vcc, v5, v7, vcc
	s_waitcnt vmcnt(1)
	global_store_dword v[6:7], v75, off
	v_add_u32_e32 v6, 0x1800, v4
	v_ashrrev_i32_e32 v7, 31, v6
	v_lshlrev_b64 v[6:7], 2, v[6:7]
	v_add_co_u32_e32 v6, vcc, s10, v6
	v_addc_co_u32_e32 v7, vcc, v5, v7, vcc
	global_store_dword v[6:7], v24, off
	v_add_u32_e32 v6, 0x1880, v4
	v_ashrrev_i32_e32 v7, 31, v6
	v_lshlrev_b64 v[6:7], 2, v[6:7]
	v_add_co_u32_e32 v6, vcc, s10, v6
	v_addc_co_u32_e32 v7, vcc, v5, v7, vcc
	;; [unrolled: 6-line block ×6, first 2 shown]
	global_store_dword v[6:7], v57, off
	buffer_load_dword v94, off, s[20:23], 0 ; 4-byte Folded Reload
	buffer_load_dword v95, off, s[20:23], 0 offset:4 ; 4-byte Folded Reload
	v_add_u32_e32 v6, 0x1b00, v4
	v_ashrrev_i32_e32 v7, 31, v6
	v_lshlrev_b64 v[6:7], 2, v[6:7]
	v_add_co_u32_e32 v6, vcc, s10, v6
	v_addc_co_u32_e32 v7, vcc, v5, v7, vcc
	s_waitcnt vmcnt(1)
	global_store_dword v[6:7], v94, off
	v_add_u32_e32 v6, 0x1b80, v4
	v_ashrrev_i32_e32 v7, 31, v6
	v_lshlrev_b64 v[6:7], 2, v[6:7]
	v_add_co_u32_e32 v6, vcc, s10, v6
	v_addc_co_u32_e32 v7, vcc, v5, v7, vcc
	s_waitcnt vmcnt(1)
	global_store_dword v[6:7], v95, off
	v_add_u32_e32 v6, 0x1c00, v4
	v_ashrrev_i32_e32 v7, 31, v6
	v_lshlrev_b64 v[6:7], 2, v[6:7]
	v_add_co_u32_e32 v6, vcc, s10, v6
	v_addc_co_u32_e32 v7, vcc, v5, v7, vcc
	global_store_dword v[6:7], v72, off
	v_add_u32_e32 v6, 0x1c80, v4
	v_ashrrev_i32_e32 v7, 31, v6
	v_lshlrev_b64 v[6:7], 2, v[6:7]
	v_add_co_u32_e32 v6, vcc, s10, v6
	v_addc_co_u32_e32 v7, vcc, v5, v7, vcc
	;; [unrolled: 6-line block ×28, first 2 shown]
	global_store_dword v[6:7], v85, off
	buffer_load_dword v0, off, s[20:23], 0 offset:80 ; 4-byte Folded Reload
	buffer_load_dword v1, off, s[20:23], 0 offset:84 ; 4-byte Folded Reload
	v_add_u32_e32 v6, 0x2a00, v4
	v_ashrrev_i32_e32 v7, 31, v6
	v_lshlrev_b64 v[6:7], 2, v[6:7]
	v_add_co_u32_e32 v6, vcc, s10, v6
	v_addc_co_u32_e32 v7, vcc, v5, v7, vcc
	s_waitcnt vmcnt(1)
	global_store_dword v[6:7], v0, off
	v_add_u32_e32 v6, 0x2a80, v4
	v_ashrrev_i32_e32 v7, 31, v6
	v_lshlrev_b64 v[6:7], 2, v[6:7]
	v_add_co_u32_e32 v6, vcc, s10, v6
	v_addc_co_u32_e32 v7, vcc, v5, v7, vcc
	s_waitcnt vmcnt(1)
	global_store_dword v[6:7], v1, off
	v_add_u32_e32 v6, 0x2b00, v4
	v_ashrrev_i32_e32 v7, 31, v6
	v_lshlrev_b64 v[6:7], 2, v[6:7]
	v_add_co_u32_e32 v6, vcc, s10, v6
	v_addc_co_u32_e32 v7, vcc, v5, v7, vcc
	global_store_dword v[6:7], v88, off
	v_add_u32_e32 v6, 0x2b80, v4
	v_ashrrev_i32_e32 v7, 31, v6
	v_lshlrev_b64 v[6:7], 2, v[6:7]
	v_add_co_u32_e32 v6, vcc, s10, v6
	v_addc_co_u32_e32 v7, vcc, v5, v7, vcc
	;; [unrolled: 6-line block ×38, first 2 shown]
	v_add_u32_e32 v2, 0x3e00, v4
	v_ashrrev_i32_e32 v3, 31, v2
	v_lshlrev_b64 v[2:3], 2, v[2:3]
	v_add_co_u32_e32 v2, vcc, s10, v2
	v_addc_co_u32_e32 v3, vcc, v5, v3, vcc
	global_store_dword v[2:3], v80, off
	v_add_u32_e32 v2, 0x3e80, v4
	v_ashrrev_i32_e32 v3, 31, v2
	v_lshlrev_b64 v[2:3], 2, v[2:3]
	v_add_co_u32_e32 v2, vcc, s10, v2
	v_addc_co_u32_e32 v3, vcc, v5, v3, vcc
	global_store_dword v[6:7], v55, off
	global_store_dword v[2:3], v81, off
	buffer_load_dword v0, off, s[20:23], 0 offset:88 ; 4-byte Folded Reload
	buffer_load_dword v1, off, s[20:23], 0 offset:92 ; 4-byte Folded Reload
	v_add_u32_e32 v2, 0x3f00, v4
	v_ashrrev_i32_e32 v3, 31, v2
	v_lshlrev_b64 v[2:3], 2, v[2:3]
	v_add_co_u32_e32 v2, vcc, s10, v2
	v_addc_co_u32_e32 v3, vcc, v5, v3, vcc
	s_waitcnt vmcnt(1)
	global_store_dword v[2:3], v0, off
	v_add_u32_e32 v2, 0x3f80, v4
	v_ashrrev_i32_e32 v3, 31, v2
	v_lshlrev_b64 v[2:3], 2, v[2:3]
	v_mov_b32_e32 v0, s11
	v_add_co_u32_e32 v2, vcc, s10, v2
	v_addc_co_u32_e32 v3, vcc, v0, v3, vcc
	s_waitcnt vmcnt(1)
	global_store_dword v[2:3], v1, off
	s_endpgm
	.section	.rodata,"a",@progbits
	.p2align	6, 0x0
	.amdhsa_kernel _ZL21gated_linear_attn_f32ILi128EEviiiifPKfS1_S1_S1_S1_Pf
		.amdhsa_group_segment_fixed_size 1536
		.amdhsa_private_segment_fixed_size 256
		.amdhsa_kernarg_size 72
		.amdhsa_user_sgpr_count 6
		.amdhsa_user_sgpr_private_segment_buffer 1
		.amdhsa_user_sgpr_dispatch_ptr 0
		.amdhsa_user_sgpr_queue_ptr 0
		.amdhsa_user_sgpr_kernarg_segment_ptr 1
		.amdhsa_user_sgpr_dispatch_id 0
		.amdhsa_user_sgpr_flat_scratch_init 0
		.amdhsa_user_sgpr_kernarg_preload_length 0
		.amdhsa_user_sgpr_kernarg_preload_offset 0
		.amdhsa_user_sgpr_private_segment_size 0
		.amdhsa_uses_dynamic_stack 0
		.amdhsa_system_sgpr_private_segment_wavefront_offset 1
		.amdhsa_system_sgpr_workgroup_id_x 1
		.amdhsa_system_sgpr_workgroup_id_y 0
		.amdhsa_system_sgpr_workgroup_id_z 0
		.amdhsa_system_sgpr_workgroup_info 0
		.amdhsa_system_vgpr_workitem_id 0
		.amdhsa_next_free_vgpr 128
		.amdhsa_next_free_sgpr 24
		.amdhsa_accum_offset 128
		.amdhsa_reserve_vcc 1
		.amdhsa_reserve_flat_scratch 0
		.amdhsa_float_round_mode_32 0
		.amdhsa_float_round_mode_16_64 0
		.amdhsa_float_denorm_mode_32 3
		.amdhsa_float_denorm_mode_16_64 3
		.amdhsa_dx10_clamp 1
		.amdhsa_ieee_mode 1
		.amdhsa_fp16_overflow 0
		.amdhsa_tg_split 0
		.amdhsa_exception_fp_ieee_invalid_op 0
		.amdhsa_exception_fp_denorm_src 0
		.amdhsa_exception_fp_ieee_div_zero 0
		.amdhsa_exception_fp_ieee_overflow 0
		.amdhsa_exception_fp_ieee_underflow 0
		.amdhsa_exception_fp_ieee_inexact 0
		.amdhsa_exception_int_div_zero 0
	.end_amdhsa_kernel
	.section	.text._ZL21gated_linear_attn_f32ILi128EEviiiifPKfS1_S1_S1_S1_Pf,"axG",@progbits,_ZL21gated_linear_attn_f32ILi128EEviiiifPKfS1_S1_S1_S1_Pf,comdat
.Lfunc_end1:
	.size	_ZL21gated_linear_attn_f32ILi128EEviiiifPKfS1_S1_S1_S1_Pf, .Lfunc_end1-_ZL21gated_linear_attn_f32ILi128EEviiiifPKfS1_S1_S1_S1_Pf
                                        ; -- End function
	.section	.AMDGPU.csdata,"",@progbits
; Kernel info:
; codeLenInByte = 14872
; NumSgprs: 28
; NumVgprs: 128
; NumAgprs: 0
; TotalNumVgprs: 128
; ScratchSize: 256
; MemoryBound: 0
; FloatMode: 240
; IeeeMode: 1
; LDSByteSize: 1536 bytes/workgroup (compile time only)
; SGPRBlocks: 3
; VGPRBlocks: 15
; NumSGPRsForWavesPerEU: 28
; NumVGPRsForWavesPerEU: 128
; AccumOffset: 128
; Occupancy: 4
; WaveLimiterHint : 1
; COMPUTE_PGM_RSRC2:SCRATCH_EN: 1
; COMPUTE_PGM_RSRC2:USER_SGPR: 6
; COMPUTE_PGM_RSRC2:TRAP_HANDLER: 0
; COMPUTE_PGM_RSRC2:TGID_X_EN: 1
; COMPUTE_PGM_RSRC2:TGID_Y_EN: 0
; COMPUTE_PGM_RSRC2:TGID_Z_EN: 0
; COMPUTE_PGM_RSRC2:TIDIG_COMP_CNT: 0
; COMPUTE_PGM_RSRC3_GFX90A:ACCUM_OFFSET: 31
; COMPUTE_PGM_RSRC3_GFX90A:TG_SPLIT: 0
	.text
	.p2alignl 6, 3212836864
	.fill 256, 4, 3212836864
	.type	__hip_cuid_a6d1abf49538e7a4,@object ; @__hip_cuid_a6d1abf49538e7a4
	.section	.bss,"aw",@nobits
	.globl	__hip_cuid_a6d1abf49538e7a4
__hip_cuid_a6d1abf49538e7a4:
	.byte	0                               ; 0x0
	.size	__hip_cuid_a6d1abf49538e7a4, 1

	.ident	"AMD clang version 19.0.0git (https://github.com/RadeonOpenCompute/llvm-project roc-6.4.0 25133 c7fe45cf4b819c5991fe208aaa96edf142730f1d)"
	.section	".note.GNU-stack","",@progbits
	.addrsig
	.addrsig_sym __hip_cuid_a6d1abf49538e7a4
	.amdgpu_metadata
---
amdhsa.kernels:
  - .agpr_count:     0
    .args:
      - .offset:         0
        .size:           4
        .value_kind:     by_value
      - .offset:         4
        .size:           4
        .value_kind:     by_value
      - .offset:         8
        .size:           4
        .value_kind:     by_value
      - .offset:         12
        .size:           4
        .value_kind:     by_value
      - .offset:         16
        .size:           4
        .value_kind:     by_value
      - .address_space:  global
        .offset:         24
        .size:           8
        .value_kind:     global_buffer
      - .address_space:  global
        .offset:         32
        .size:           8
        .value_kind:     global_buffer
      - .address_space:  global
        .offset:         40
        .size:           8
        .value_kind:     global_buffer
      - .address_space:  global
        .offset:         48
        .size:           8
        .value_kind:     global_buffer
      - .address_space:  global
        .offset:         56
        .size:           8
        .value_kind:     global_buffer
      - .address_space:  global
        .offset:         64
        .size:           8
        .value_kind:     global_buffer
    .group_segment_fixed_size: 768
    .kernarg_segment_align: 8
    .kernarg_segment_size: 72
    .language:       OpenCL C
    .language_version:
      - 2
      - 0
    .max_flat_workgroup_size: 1024
    .name:           _ZL21gated_linear_attn_f32ILi64EEviiiifPKfS1_S1_S1_S1_Pf
    .private_segment_fixed_size: 56
    .sgpr_count:     32
    .sgpr_spill_count: 0
    .symbol:         _ZL21gated_linear_attn_f32ILi64EEviiiifPKfS1_S1_S1_S1_Pf.kd
    .uniform_work_group_size: 1
    .uses_dynamic_stack: false
    .vgpr_count:     128
    .vgpr_spill_count: 24
    .wavefront_size: 64
  - .agpr_count:     0
    .args:
      - .offset:         0
        .size:           4
        .value_kind:     by_value
      - .offset:         4
        .size:           4
        .value_kind:     by_value
      - .offset:         8
        .size:           4
        .value_kind:     by_value
      - .offset:         12
        .size:           4
        .value_kind:     by_value
      - .offset:         16
        .size:           4
        .value_kind:     by_value
      - .address_space:  global
        .offset:         24
        .size:           8
        .value_kind:     global_buffer
      - .address_space:  global
        .offset:         32
        .size:           8
        .value_kind:     global_buffer
      - .address_space:  global
        .offset:         40
        .size:           8
        .value_kind:     global_buffer
      - .address_space:  global
        .offset:         48
        .size:           8
        .value_kind:     global_buffer
      - .address_space:  global
        .offset:         56
        .size:           8
        .value_kind:     global_buffer
      - .address_space:  global
        .offset:         64
        .size:           8
        .value_kind:     global_buffer
    .group_segment_fixed_size: 1536
    .kernarg_segment_align: 8
    .kernarg_segment_size: 72
    .language:       OpenCL C
    .language_version:
      - 2
      - 0
    .max_flat_workgroup_size: 1024
    .name:           _ZL21gated_linear_attn_f32ILi128EEviiiifPKfS1_S1_S1_S1_Pf
    .private_segment_fixed_size: 256
    .sgpr_count:     28
    .sgpr_spill_count: 0
    .symbol:         _ZL21gated_linear_attn_f32ILi128EEviiiifPKfS1_S1_S1_S1_Pf.kd
    .uniform_work_group_size: 1
    .uses_dynamic_stack: false
    .vgpr_count:     128
    .vgpr_spill_count: 119
    .wavefront_size: 64
amdhsa.target:   amdgcn-amd-amdhsa--gfx90a
amdhsa.version:
  - 1
  - 2
...

	.end_amdgpu_metadata
